;; amdgpu-corpus repo=ROCm/composable_kernel kind=compiled arch=gfx1201 opt=O3
	.amdgcn_target "amdgcn-amd-amdhsa--gfx1201"
	.amdhsa_code_object_version 6
	.section	.text._ZN2ckL12flush_icacheEv,"axG",@progbits,_ZN2ckL12flush_icacheEv,comdat
	.globl	_ZN2ckL12flush_icacheEv         ; -- Begin function _ZN2ckL12flush_icacheEv
	.p2align	8
	.type	_ZN2ckL12flush_icacheEv,@function
_ZN2ckL12flush_icacheEv:                ; @_ZN2ckL12flush_icacheEv
; %bb.0:
	;;#ASMSTART
	s_icache_inv 
	s_nop 0 
	s_nop 0 
	;; [unrolled: 1-line block ×16, first 2 shown]
	
	;;#ASMEND
	s_endpgm
	.section	.rodata,"a",@progbits
	.p2align	6, 0x0
	.amdhsa_kernel _ZN2ckL12flush_icacheEv
		.amdhsa_group_segment_fixed_size 0
		.amdhsa_private_segment_fixed_size 0
		.amdhsa_kernarg_size 0
		.amdhsa_user_sgpr_count 0
		.amdhsa_user_sgpr_dispatch_ptr 0
		.amdhsa_user_sgpr_queue_ptr 0
		.amdhsa_user_sgpr_kernarg_segment_ptr 0
		.amdhsa_user_sgpr_dispatch_id 0
		.amdhsa_user_sgpr_private_segment_size 0
		.amdhsa_wavefront_size32 1
		.amdhsa_uses_dynamic_stack 0
		.amdhsa_enable_private_segment 0
		.amdhsa_system_sgpr_workgroup_id_x 1
		.amdhsa_system_sgpr_workgroup_id_y 0
		.amdhsa_system_sgpr_workgroup_id_z 0
		.amdhsa_system_sgpr_workgroup_info 0
		.amdhsa_system_vgpr_workitem_id 0
		.amdhsa_next_free_vgpr 1
		.amdhsa_next_free_sgpr 1
		.amdhsa_reserve_vcc 0
		.amdhsa_float_round_mode_32 0
		.amdhsa_float_round_mode_16_64 0
		.amdhsa_float_denorm_mode_32 3
		.amdhsa_float_denorm_mode_16_64 3
		.amdhsa_fp16_overflow 0
		.amdhsa_workgroup_processor_mode 1
		.amdhsa_memory_ordered 1
		.amdhsa_forward_progress 1
		.amdhsa_inst_pref_size 1
		.amdhsa_round_robin_scheduling 0
		.amdhsa_exception_fp_ieee_invalid_op 0
		.amdhsa_exception_fp_denorm_src 0
		.amdhsa_exception_fp_ieee_div_zero 0
		.amdhsa_exception_fp_ieee_overflow 0
		.amdhsa_exception_fp_ieee_underflow 0
		.amdhsa_exception_fp_ieee_inexact 0
		.amdhsa_exception_int_div_zero 0
	.end_amdhsa_kernel
	.section	.text._ZN2ckL12flush_icacheEv,"axG",@progbits,_ZN2ckL12flush_icacheEv,comdat
.Lfunc_end0:
	.size	_ZN2ckL12flush_icacheEv, .Lfunc_end0-_ZN2ckL12flush_icacheEv
                                        ; -- End function
	.set _ZN2ckL12flush_icacheEv.num_vgpr, 0
	.set _ZN2ckL12flush_icacheEv.num_agpr, 0
	.set _ZN2ckL12flush_icacheEv.numbered_sgpr, 0
	.set _ZN2ckL12flush_icacheEv.num_named_barrier, 0
	.set _ZN2ckL12flush_icacheEv.private_seg_size, 0
	.set _ZN2ckL12flush_icacheEv.uses_vcc, 0
	.set _ZN2ckL12flush_icacheEv.uses_flat_scratch, 0
	.set _ZN2ckL12flush_icacheEv.has_dyn_sized_stack, 0
	.set _ZN2ckL12flush_icacheEv.has_recursion, 0
	.set _ZN2ckL12flush_icacheEv.has_indirect_call, 0
	.section	.AMDGPU.csdata,"",@progbits
; Kernel info:
; codeLenInByte = 4
; TotalNumSgprs: 0
; NumVgprs: 0
; ScratchSize: 0
; MemoryBound: 0
; FloatMode: 240
; IeeeMode: 1
; LDSByteSize: 0 bytes/workgroup (compile time only)
; SGPRBlocks: 0
; VGPRBlocks: 0
; NumSGPRsForWavesPerEU: 1
; NumVGPRsForWavesPerEU: 1
; Occupancy: 16
; WaveLimiterHint : 0
; COMPUTE_PGM_RSRC2:SCRATCH_EN: 0
; COMPUTE_PGM_RSRC2:USER_SGPR: 0
; COMPUTE_PGM_RSRC2:TRAP_HANDLER: 0
; COMPUTE_PGM_RSRC2:TGID_X_EN: 1
; COMPUTE_PGM_RSRC2:TGID_Y_EN: 0
; COMPUTE_PGM_RSRC2:TGID_Z_EN: 0
; COMPUTE_PGM_RSRC2:TIDIG_COMP_CNT: 0
	.section	.text._ZN2ck16kernel_gemm_wmmaINS_17GridwiseGemm_WmmaILi128EDF16bDF16bffDF16bLNS_25InMemoryDataOperationEnumE0ENS_16TensorDescriptorINS_5TupleIJNS_5EmbedINS4_IJiiEEENS4_IJiNS_17integral_constantIiLi1EEEEEELb0EEENS_8RightPadIiiLb0EEESC_NS_7UnMergeINS4_IJiNS7_IiLi2EEEEEELb0EEENS_11PassThroughIiEEEEENS4_IJNS_8SequenceIJLi0EEEENSK_IJLi1EEEENSK_IJLi2EEEENSK_IJLi4EEEENSK_IJLi3EEEEEEENS4_IJNSK_IJLi1ELi2EEEESP_SO_NSK_IJLi5ELi6EEEENSK_IJLi7EEEEEEENSK_IJLi5ELi7ELi6EEEElEESW_NS3_INS4_IJSA_SC_SC_EEENS4_IJSL_SM_SN_EEENS4_IJSR_SP_SO_EEENSK_IJLi3ELi4EEEElEENS_16tensor_operation12element_wise11PassThroughES14_S14_Li64ELi128ELi64ELi16ELi16ELi2ELi2ELi4ENSK_IJLi4ELi32ELi1EEEENSK_IJLi1ELi0ELi2EEEES16_Li2ELi2ELi2ELb0ELb1ELb1ES15_S16_S16_Li2ELi2ELi2ELb0ELb1ELb1ELi1ELi1ENSK_IJLi1ELi32ELi1ELi4EEEELi8ELi1ELNS_13LoopSchedulerE0ELNS_15PipelineVersionE0EEEDF16bDF16bDF16bSW_SW_NS3_INS4_IJSA_SC_SC_NSD_INS4_IJiNS7_IiLi64EEEEEELb0EEENSD_INS4_IJiNS7_IiLi128EEEEEELb0EEEEEENS4_IJSL_SM_SN_SP_SO_EEENS4_IJSR_SP_SO_SS_NSK_IJLi7ELi8EEEEEEENSK_IJLi5ELi6ELi7ELi8EEEElEES14_S14_S14_NS_31BlockToCTileMap_M00_N0_M01AdaptILi64ELi128ES11_iEELb1EEEvPKT0_PKT1_PT2_T3_T4_T5_T6_T7_T8_T9_,"axG",@progbits,_ZN2ck16kernel_gemm_wmmaINS_17GridwiseGemm_WmmaILi128EDF16bDF16bffDF16bLNS_25InMemoryDataOperationEnumE0ENS_16TensorDescriptorINS_5TupleIJNS_5EmbedINS4_IJiiEEENS4_IJiNS_17integral_constantIiLi1EEEEEELb0EEENS_8RightPadIiiLb0EEESC_NS_7UnMergeINS4_IJiNS7_IiLi2EEEEEELb0EEENS_11PassThroughIiEEEEENS4_IJNS_8SequenceIJLi0EEEENSK_IJLi1EEEENSK_IJLi2EEEENSK_IJLi4EEEENSK_IJLi3EEEEEEENS4_IJNSK_IJLi1ELi2EEEESP_SO_NSK_IJLi5ELi6EEEENSK_IJLi7EEEEEEENSK_IJLi5ELi7ELi6EEEElEESW_NS3_INS4_IJSA_SC_SC_EEENS4_IJSL_SM_SN_EEENS4_IJSR_SP_SO_EEENSK_IJLi3ELi4EEEElEENS_16tensor_operation12element_wise11PassThroughES14_S14_Li64ELi128ELi64ELi16ELi16ELi2ELi2ELi4ENSK_IJLi4ELi32ELi1EEEENSK_IJLi1ELi0ELi2EEEES16_Li2ELi2ELi2ELb0ELb1ELb1ES15_S16_S16_Li2ELi2ELi2ELb0ELb1ELb1ELi1ELi1ENSK_IJLi1ELi32ELi1ELi4EEEELi8ELi1ELNS_13LoopSchedulerE0ELNS_15PipelineVersionE0EEEDF16bDF16bDF16bSW_SW_NS3_INS4_IJSA_SC_SC_NSD_INS4_IJiNS7_IiLi64EEEEEELb0EEENSD_INS4_IJiNS7_IiLi128EEEEEELb0EEEEEENS4_IJSL_SM_SN_SP_SO_EEENS4_IJSR_SP_SO_SS_NSK_IJLi7ELi8EEEEEEENSK_IJLi5ELi6ELi7ELi8EEEElEES14_S14_S14_NS_31BlockToCTileMap_M00_N0_M01AdaptILi64ELi128ES11_iEELb1EEEvPKT0_PKT1_PT2_T3_T4_T5_T6_T7_T8_T9_,comdat
	.protected	_ZN2ck16kernel_gemm_wmmaINS_17GridwiseGemm_WmmaILi128EDF16bDF16bffDF16bLNS_25InMemoryDataOperationEnumE0ENS_16TensorDescriptorINS_5TupleIJNS_5EmbedINS4_IJiiEEENS4_IJiNS_17integral_constantIiLi1EEEEEELb0EEENS_8RightPadIiiLb0EEESC_NS_7UnMergeINS4_IJiNS7_IiLi2EEEEEELb0EEENS_11PassThroughIiEEEEENS4_IJNS_8SequenceIJLi0EEEENSK_IJLi1EEEENSK_IJLi2EEEENSK_IJLi4EEEENSK_IJLi3EEEEEEENS4_IJNSK_IJLi1ELi2EEEESP_SO_NSK_IJLi5ELi6EEEENSK_IJLi7EEEEEEENSK_IJLi5ELi7ELi6EEEElEESW_NS3_INS4_IJSA_SC_SC_EEENS4_IJSL_SM_SN_EEENS4_IJSR_SP_SO_EEENSK_IJLi3ELi4EEEElEENS_16tensor_operation12element_wise11PassThroughES14_S14_Li64ELi128ELi64ELi16ELi16ELi2ELi2ELi4ENSK_IJLi4ELi32ELi1EEEENSK_IJLi1ELi0ELi2EEEES16_Li2ELi2ELi2ELb0ELb1ELb1ES15_S16_S16_Li2ELi2ELi2ELb0ELb1ELb1ELi1ELi1ENSK_IJLi1ELi32ELi1ELi4EEEELi8ELi1ELNS_13LoopSchedulerE0ELNS_15PipelineVersionE0EEEDF16bDF16bDF16bSW_SW_NS3_INS4_IJSA_SC_SC_NSD_INS4_IJiNS7_IiLi64EEEEEELb0EEENSD_INS4_IJiNS7_IiLi128EEEEEELb0EEEEEENS4_IJSL_SM_SN_SP_SO_EEENS4_IJSR_SP_SO_SS_NSK_IJLi7ELi8EEEEEEENSK_IJLi5ELi6ELi7ELi8EEEElEES14_S14_S14_NS_31BlockToCTileMap_M00_N0_M01AdaptILi64ELi128ES11_iEELb1EEEvPKT0_PKT1_PT2_T3_T4_T5_T6_T7_T8_T9_ ; -- Begin function _ZN2ck16kernel_gemm_wmmaINS_17GridwiseGemm_WmmaILi128EDF16bDF16bffDF16bLNS_25InMemoryDataOperationEnumE0ENS_16TensorDescriptorINS_5TupleIJNS_5EmbedINS4_IJiiEEENS4_IJiNS_17integral_constantIiLi1EEEEEELb0EEENS_8RightPadIiiLb0EEESC_NS_7UnMergeINS4_IJiNS7_IiLi2EEEEEELb0EEENS_11PassThroughIiEEEEENS4_IJNS_8SequenceIJLi0EEEENSK_IJLi1EEEENSK_IJLi2EEEENSK_IJLi4EEEENSK_IJLi3EEEEEEENS4_IJNSK_IJLi1ELi2EEEESP_SO_NSK_IJLi5ELi6EEEENSK_IJLi7EEEEEEENSK_IJLi5ELi7ELi6EEEElEESW_NS3_INS4_IJSA_SC_SC_EEENS4_IJSL_SM_SN_EEENS4_IJSR_SP_SO_EEENSK_IJLi3ELi4EEEElEENS_16tensor_operation12element_wise11PassThroughES14_S14_Li64ELi128ELi64ELi16ELi16ELi2ELi2ELi4ENSK_IJLi4ELi32ELi1EEEENSK_IJLi1ELi0ELi2EEEES16_Li2ELi2ELi2ELb0ELb1ELb1ES15_S16_S16_Li2ELi2ELi2ELb0ELb1ELb1ELi1ELi1ENSK_IJLi1ELi32ELi1ELi4EEEELi8ELi1ELNS_13LoopSchedulerE0ELNS_15PipelineVersionE0EEEDF16bDF16bDF16bSW_SW_NS3_INS4_IJSA_SC_SC_NSD_INS4_IJiNS7_IiLi64EEEEEELb0EEENSD_INS4_IJiNS7_IiLi128EEEEEELb0EEEEEENS4_IJSL_SM_SN_SP_SO_EEENS4_IJSR_SP_SO_SS_NSK_IJLi7ELi8EEEEEEENSK_IJLi5ELi6ELi7ELi8EEEElEES14_S14_S14_NS_31BlockToCTileMap_M00_N0_M01AdaptILi64ELi128ES11_iEELb1EEEvPKT0_PKT1_PT2_T3_T4_T5_T6_T7_T8_T9_
	.globl	_ZN2ck16kernel_gemm_wmmaINS_17GridwiseGemm_WmmaILi128EDF16bDF16bffDF16bLNS_25InMemoryDataOperationEnumE0ENS_16TensorDescriptorINS_5TupleIJNS_5EmbedINS4_IJiiEEENS4_IJiNS_17integral_constantIiLi1EEEEEELb0EEENS_8RightPadIiiLb0EEESC_NS_7UnMergeINS4_IJiNS7_IiLi2EEEEEELb0EEENS_11PassThroughIiEEEEENS4_IJNS_8SequenceIJLi0EEEENSK_IJLi1EEEENSK_IJLi2EEEENSK_IJLi4EEEENSK_IJLi3EEEEEEENS4_IJNSK_IJLi1ELi2EEEESP_SO_NSK_IJLi5ELi6EEEENSK_IJLi7EEEEEEENSK_IJLi5ELi7ELi6EEEElEESW_NS3_INS4_IJSA_SC_SC_EEENS4_IJSL_SM_SN_EEENS4_IJSR_SP_SO_EEENSK_IJLi3ELi4EEEElEENS_16tensor_operation12element_wise11PassThroughES14_S14_Li64ELi128ELi64ELi16ELi16ELi2ELi2ELi4ENSK_IJLi4ELi32ELi1EEEENSK_IJLi1ELi0ELi2EEEES16_Li2ELi2ELi2ELb0ELb1ELb1ES15_S16_S16_Li2ELi2ELi2ELb0ELb1ELb1ELi1ELi1ENSK_IJLi1ELi32ELi1ELi4EEEELi8ELi1ELNS_13LoopSchedulerE0ELNS_15PipelineVersionE0EEEDF16bDF16bDF16bSW_SW_NS3_INS4_IJSA_SC_SC_NSD_INS4_IJiNS7_IiLi64EEEEEELb0EEENSD_INS4_IJiNS7_IiLi128EEEEEELb0EEEEEENS4_IJSL_SM_SN_SP_SO_EEENS4_IJSR_SP_SO_SS_NSK_IJLi7ELi8EEEEEEENSK_IJLi5ELi6ELi7ELi8EEEElEES14_S14_S14_NS_31BlockToCTileMap_M00_N0_M01AdaptILi64ELi128ES11_iEELb1EEEvPKT0_PKT1_PT2_T3_T4_T5_T6_T7_T8_T9_
	.p2align	8
	.type	_ZN2ck16kernel_gemm_wmmaINS_17GridwiseGemm_WmmaILi128EDF16bDF16bffDF16bLNS_25InMemoryDataOperationEnumE0ENS_16TensorDescriptorINS_5TupleIJNS_5EmbedINS4_IJiiEEENS4_IJiNS_17integral_constantIiLi1EEEEEELb0EEENS_8RightPadIiiLb0EEESC_NS_7UnMergeINS4_IJiNS7_IiLi2EEEEEELb0EEENS_11PassThroughIiEEEEENS4_IJNS_8SequenceIJLi0EEEENSK_IJLi1EEEENSK_IJLi2EEEENSK_IJLi4EEEENSK_IJLi3EEEEEEENS4_IJNSK_IJLi1ELi2EEEESP_SO_NSK_IJLi5ELi6EEEENSK_IJLi7EEEEEEENSK_IJLi5ELi7ELi6EEEElEESW_NS3_INS4_IJSA_SC_SC_EEENS4_IJSL_SM_SN_EEENS4_IJSR_SP_SO_EEENSK_IJLi3ELi4EEEElEENS_16tensor_operation12element_wise11PassThroughES14_S14_Li64ELi128ELi64ELi16ELi16ELi2ELi2ELi4ENSK_IJLi4ELi32ELi1EEEENSK_IJLi1ELi0ELi2EEEES16_Li2ELi2ELi2ELb0ELb1ELb1ES15_S16_S16_Li2ELi2ELi2ELb0ELb1ELb1ELi1ELi1ENSK_IJLi1ELi32ELi1ELi4EEEELi8ELi1ELNS_13LoopSchedulerE0ELNS_15PipelineVersionE0EEEDF16bDF16bDF16bSW_SW_NS3_INS4_IJSA_SC_SC_NSD_INS4_IJiNS7_IiLi64EEEEEELb0EEENSD_INS4_IJiNS7_IiLi128EEEEEELb0EEEEEENS4_IJSL_SM_SN_SP_SO_EEENS4_IJSR_SP_SO_SS_NSK_IJLi7ELi8EEEEEEENSK_IJLi5ELi6ELi7ELi8EEEElEES14_S14_S14_NS_31BlockToCTileMap_M00_N0_M01AdaptILi64ELi128ES11_iEELb1EEEvPKT0_PKT1_PT2_T3_T4_T5_T6_T7_T8_T9_,@function
_ZN2ck16kernel_gemm_wmmaINS_17GridwiseGemm_WmmaILi128EDF16bDF16bffDF16bLNS_25InMemoryDataOperationEnumE0ENS_16TensorDescriptorINS_5TupleIJNS_5EmbedINS4_IJiiEEENS4_IJiNS_17integral_constantIiLi1EEEEEELb0EEENS_8RightPadIiiLb0EEESC_NS_7UnMergeINS4_IJiNS7_IiLi2EEEEEELb0EEENS_11PassThroughIiEEEEENS4_IJNS_8SequenceIJLi0EEEENSK_IJLi1EEEENSK_IJLi2EEEENSK_IJLi4EEEENSK_IJLi3EEEEEEENS4_IJNSK_IJLi1ELi2EEEESP_SO_NSK_IJLi5ELi6EEEENSK_IJLi7EEEEEEENSK_IJLi5ELi7ELi6EEEElEESW_NS3_INS4_IJSA_SC_SC_EEENS4_IJSL_SM_SN_EEENS4_IJSR_SP_SO_EEENSK_IJLi3ELi4EEEElEENS_16tensor_operation12element_wise11PassThroughES14_S14_Li64ELi128ELi64ELi16ELi16ELi2ELi2ELi4ENSK_IJLi4ELi32ELi1EEEENSK_IJLi1ELi0ELi2EEEES16_Li2ELi2ELi2ELb0ELb1ELb1ES15_S16_S16_Li2ELi2ELi2ELb0ELb1ELb1ELi1ELi1ENSK_IJLi1ELi32ELi1ELi4EEEELi8ELi1ELNS_13LoopSchedulerE0ELNS_15PipelineVersionE0EEEDF16bDF16bDF16bSW_SW_NS3_INS4_IJSA_SC_SC_NSD_INS4_IJiNS7_IiLi64EEEEEELb0EEENSD_INS4_IJiNS7_IiLi128EEEEEELb0EEEEEENS4_IJSL_SM_SN_SP_SO_EEENS4_IJSR_SP_SO_SS_NSK_IJLi7ELi8EEEEEEENSK_IJLi5ELi6ELi7ELi8EEEElEES14_S14_S14_NS_31BlockToCTileMap_M00_N0_M01AdaptILi64ELi128ES11_iEELb1EEEvPKT0_PKT1_PT2_T3_T4_T5_T6_T7_T8_T9_: ; @_ZN2ck16kernel_gemm_wmmaINS_17GridwiseGemm_WmmaILi128EDF16bDF16bffDF16bLNS_25InMemoryDataOperationEnumE0ENS_16TensorDescriptorINS_5TupleIJNS_5EmbedINS4_IJiiEEENS4_IJiNS_17integral_constantIiLi1EEEEEELb0EEENS_8RightPadIiiLb0EEESC_NS_7UnMergeINS4_IJiNS7_IiLi2EEEEEELb0EEENS_11PassThroughIiEEEEENS4_IJNS_8SequenceIJLi0EEEENSK_IJLi1EEEENSK_IJLi2EEEENSK_IJLi4EEEENSK_IJLi3EEEEEEENS4_IJNSK_IJLi1ELi2EEEESP_SO_NSK_IJLi5ELi6EEEENSK_IJLi7EEEEEEENSK_IJLi5ELi7ELi6EEEElEESW_NS3_INS4_IJSA_SC_SC_EEENS4_IJSL_SM_SN_EEENS4_IJSR_SP_SO_EEENSK_IJLi3ELi4EEEElEENS_16tensor_operation12element_wise11PassThroughES14_S14_Li64ELi128ELi64ELi16ELi16ELi2ELi2ELi4ENSK_IJLi4ELi32ELi1EEEENSK_IJLi1ELi0ELi2EEEES16_Li2ELi2ELi2ELb0ELb1ELb1ES15_S16_S16_Li2ELi2ELi2ELb0ELb1ELb1ELi1ELi1ENSK_IJLi1ELi32ELi1ELi4EEEELi8ELi1ELNS_13LoopSchedulerE0ELNS_15PipelineVersionE0EEEDF16bDF16bDF16bSW_SW_NS3_INS4_IJSA_SC_SC_NSD_INS4_IJiNS7_IiLi64EEEEEELb0EEENSD_INS4_IJiNS7_IiLi128EEEEEELb0EEEEEENS4_IJSL_SM_SN_SP_SO_EEENS4_IJSR_SP_SO_SS_NSK_IJLi7ELi8EEEEEEENSK_IJLi5ELi6ELi7ELi8EEEElEES14_S14_S14_NS_31BlockToCTileMap_M00_N0_M01AdaptILi64ELi128ES11_iEELb1EEEvPKT0_PKT1_PT2_T3_T4_T5_T6_T7_T8_T9_
; %bb.0:
	s_load_b96 s[4:6], s[0:1], 0xfc
	s_abs_i32 s9, ttmp9
	s_clause 0x1
	s_load_b32 s21, s[0:1], 0x20
	s_load_b32 s23, s[0:1], 0x68
	v_lshrrev_b32_e32 v151, 1, v0
	v_dual_mov_b32 v41, 0 :: v_dual_and_b32 v152, 15, v0
	s_mov_b32 s67, 0x31004000
	v_and_b32_e32 v93, 0xfc, v0
	s_delay_alu instid0(VALU_DEP_2) | instskip(SKIP_2) | instid1(VALU_DEP_4)
	v_dual_mov_b32 v44, v41 :: v_dual_and_b32 v85, 0x7e, v151
	v_dual_mov_b32 v28, v41 :: v_dual_and_b32 v95, 32, v0
	;; [unrolled: 1-line block ×3, first 2 shown]
	v_lshlrev_b32_e32 v97, 2, v93
	s_delay_alu instid0(VALU_DEP_4) | instskip(SKIP_1) | instid1(VALU_DEP_4)
	v_lshlrev_b32_e32 v99, 2, v85
	v_bfe_u32 v94, v0, 4, 1
	v_lshlrev_b32_e32 v113, 5, v96
	s_mov_b32 s63, s67
	s_wait_kmcnt 0x0
	s_add_co_i32 s2, s4, 63
	s_add_co_i32 s3, s5, 0x7f
	s_ashr_i32 s4, s2, 31
	s_ashr_i32 s5, s3, 31
	s_lshr_b32 s4, s4, 26
	s_lshr_b32 s5, s5, 25
	s_add_co_i32 s2, s2, s4
	s_add_co_i32 s3, s3, s5
	s_ashr_i32 s4, s2, 6
	s_ashr_i32 s3, s3, 7
	v_mul_u32_u24_e32 v98, 0x104, v94
	s_mul_i32 s5, s3, s4
	v_mov_b32_e32 v42, v41
	s_abs_i32 s5, s5
	v_mov_b32_e32 v43, v41
	s_cvt_f32_u32 s7, s5
	s_sub_co_i32 s8, 0, s5
	v_mov_b32_e32 v45, v41
	s_load_b64 s[56:57], s[0:1], 0x10
	v_rcp_iflag_f32_e32 v1, s7
	v_dual_mov_b32 v46, v41 :: v_dual_mov_b32 v47, v41
	v_mov_b32_e32 v48, v41
	v_mov_b32_e32 v26, v41
	v_dual_mov_b32 v30, v41 :: v_dual_mov_b32 v25, v41
	v_mov_b32_e32 v32, v41
	v_dual_mov_b32 v18, v41 :: v_dual_mov_b32 v27, v41
	s_delay_alu instid0(TRANS32_DEP_1)
	v_readfirstlane_b32 s7, v1
	v_mov_b32_e32 v22, v41
	v_dual_mov_b32 v20, v41 :: v_dual_mov_b32 v29, v41
	v_mov_b32_e32 v24, v41
	s_mul_f32 s7, s7, 0x4f7ffffe
	v_mov_b32_e32 v10, v41
	v_dual_mov_b32 v14, v41 :: v_dual_mov_b32 v31, v41
	s_wait_alu 0xfffe
	s_cvt_u32_f32 s7, s7
	v_mov_b32_e32 v12, v41
	v_mov_b32_e32 v16, v41
	s_wait_alu 0xfffe
	s_mul_i32 s8, s8, s7
	s_delay_alu instid0(SALU_CYCLE_1) | instskip(NEXT) | instid1(SALU_CYCLE_1)
	s_mul_hi_u32 s8, s7, s8
	s_add_co_i32 s7, s7, s8
	s_ashr_i32 s8, ttmp9, 31
	s_wait_alu 0xfffe
	s_mul_hi_u32 s7, s9, s7
	s_wait_alu 0xfffe
	s_mul_i32 s7, s7, s5
	s_wait_alu 0xfffe
	s_sub_co_i32 s7, s9, s7
	s_wait_alu 0xfffe
	s_sub_co_i32 s9, s7, s5
	s_cmp_ge_u32 s7, s5
	s_cselect_b32 s7, s9, s7
	s_wait_alu 0xfffe
	s_sub_co_i32 s9, s7, s5
	s_cmp_ge_u32 s7, s5
	s_cselect_b32 s5, s9, s7
	s_abs_i32 s7, s3
	s_xor_b32 s5, s5, s8
	s_wait_alu 0xfffe
	s_cvt_f32_u32 s9, s7
	s_sub_co_i32 s10, 0, s7
	s_sub_co_i32 s5, s5, s8
	s_delay_alu instid0(SALU_CYCLE_1) | instskip(NEXT) | instid1(TRANS32_DEP_1)
	v_rcp_iflag_f32_e32 v1, s9
	v_readfirstlane_b32 s9, v1
	s_mul_f32 s9, s9, 0x4f7ffffe
	s_wait_alu 0xfffe
	s_delay_alu instid0(SALU_CYCLE_2) | instskip(SKIP_1) | instid1(SALU_CYCLE_2)
	s_cvt_u32_f32 s9, s9
	s_wait_alu 0xfffe
	s_mul_i32 s10, s10, s9
	s_delay_alu instid0(SALU_CYCLE_1)
	s_mul_hi_u32 s8, s9, s10
	s_abs_i32 s10, s5
	s_wait_alu 0xfffe
	s_add_co_i32 s9, s9, s8
	s_wait_alu 0xfffe
	s_mul_hi_u32 s8, s10, s9
	s_xor_b32 s9, s5, s3
	s_wait_alu 0xfffe
	s_mul_i32 s11, s8, s7
	s_ashr_i32 s9, s9, 31
	s_sub_co_i32 s10, s10, s11
	s_add_co_i32 s11, s8, 1
	s_sub_co_i32 s12, s10, s7
	s_cmp_ge_u32 s10, s7
	s_cselect_b32 s8, s11, s8
	s_cselect_b32 s10, s12, s10
	s_wait_alu 0xfffe
	s_add_co_i32 s11, s8, 1
	s_cmp_ge_u32 s10, s7
	s_cselect_b32 s7, s11, s8
	s_abs_i32 s8, s6
	s_abs_i32 s12, s4
	s_wait_alu 0xfffe
	s_cvt_f32_u32 s10, s8
	s_sub_co_i32 s11, 0, s8
	s_xor_b32 s7, s7, s9
	s_ashr_i32 s2, s2, 31
	v_rcp_iflag_f32_e32 v1, s10
	s_wait_alu 0xfffe
	s_sub_co_i32 s9, s7, s9
	s_delay_alu instid0(TRANS32_DEP_1) | instskip(SKIP_2) | instid1(SALU_CYCLE_2)
	v_readfirstlane_b32 s10, v1
	s_mul_f32 s10, s10, 0x4f7ffffe
	s_wait_alu 0xfffe
	s_cvt_u32_f32 s10, s10
	s_wait_alu 0xfffe
	s_delay_alu instid0(SALU_CYCLE_2)
	s_mul_i32 s11, s11, s10
	s_wait_alu 0xfffe
	s_mul_hi_u32 s11, s10, s11
	s_wait_alu 0xfffe
	s_add_co_i32 s10, s10, s11
	s_wait_alu 0xfffe
	s_mul_hi_u32 s11, s12, s10
	s_wait_alu 0xfffe
	s_mul_i32 s11, s11, s8
	s_wait_alu 0xfffe
	s_sub_co_i32 s11, s12, s11
	s_wait_alu 0xfffe
	s_sub_co_i32 s7, s11, s8
	s_cmp_ge_u32 s11, s8
	s_wait_alu 0xfffe
	s_cselect_b32 s7, s7, s11
	s_wait_alu 0xfffe
	s_sub_co_i32 s11, s7, s8
	s_cmp_ge_u32 s7, s8
	s_wait_alu 0xfffe
	s_cselect_b32 s7, s11, s7
	s_wait_alu 0xfffe
	s_xor_b32 s7, s7, s2
	s_wait_alu 0xfffe
	s_sub_co_i32 s2, s7, s2
	s_mul_i32 s7, s9, s3
	s_sub_co_i32 s4, s4, s2
	s_delay_alu instid0(SALU_CYCLE_1)
	s_cmp_lt_i32 s9, s4
	s_cselect_b32 s2, s6, s2
	s_abs_i32 s4, s9
	s_wait_alu 0xfffe
	s_sub_co_i32 s5, s5, s7
	s_mul_hi_u32 s6, s4, s10
	s_wait_alu 0xfffe
	s_mul_i32 s6, s6, s8
	s_wait_alu 0xfffe
	s_sub_co_i32 s4, s4, s6
	s_ashr_i32 s6, s9, 31
	s_sub_co_i32 s7, s4, s8
	s_cmp_ge_u32 s4, s8
	s_wait_alu 0xfffe
	s_cselect_b32 s4, s7, s4
	s_delay_alu instid0(SALU_CYCLE_1)
	s_sub_co_i32 s7, s4, s8
	s_cmp_ge_u32 s4, s8
	s_wait_alu 0xfffe
	s_cselect_b32 s4, s7, s4
	s_abs_i32 s7, s2
	s_xor_b32 s4, s4, s6
	s_wait_alu 0xfffe
	s_cvt_f32_u32 s8, s7
	s_sub_co_i32 s10, s4, s6
	s_sub_co_i32 s4, 0, s7
	s_wait_alu 0xfffe
	s_mul_i32 s3, s10, s3
	v_rcp_iflag_f32_e32 v1, s8
	s_add_co_i32 s3, s3, s5
	s_delay_alu instid0(SALU_CYCLE_1) | instskip(SKIP_3) | instid1(TRANS32_DEP_1)
	s_abs_i32 s5, s3
	s_xor_b32 s6, s3, s2
	s_wait_alu 0xfffe
	s_ashr_i32 s11, s6, 31
	v_readfirstlane_b32 s8, v1
	v_lshlrev_b32_e32 v1, 3, v0
	s_mul_f32 s8, s8, 0x4f7ffffe
	s_delay_alu instid0(VALU_DEP_1) | instskip(SKIP_1) | instid1(SALU_CYCLE_1)
	v_dual_mov_b32 v19, v41 :: v_dual_and_b32 v150, 24, v1
	s_wait_alu 0xfffe
	s_cvt_u32_f32 s8, s8
	s_delay_alu instid0(VALU_DEP_1)
	v_lshlrev_b32_e32 v86, 1, v150
	v_mul_u32_u24_e32 v96, 0x104, v150
	s_wait_alu 0xfffe
	s_mul_i32 s4, s4, s8
	v_lshlrev_b32_e32 v100, 8, v150
	s_mul_hi_u32 s4, s8, s4
	v_or_b32_e32 v102, 4, v86
	s_add_co_i32 s8, s8, s4
	v_add_nc_u32_e32 v115, v96, v99
	s_wait_alu 0xfffe
	s_mul_hi_u32 s4, s5, s8
	v_or_b32_e32 v103, 6, v86
	s_mul_i32 s8, s4, s7
	s_add_co_i32 s6, s4, 1
	s_wait_alu 0xfffe
	s_sub_co_i32 s5, s5, s8
	v_or_b32_e32 v104, 8, v86
	s_sub_co_i32 s8, s5, s7
	s_cmp_ge_u32 s5, s7
	v_or_b32_e32 v105, 10, v86
	s_cselect_b32 s4, s6, s4
	s_wait_alu 0xfffe
	s_cselect_b32 s5, s8, s5
	s_add_co_i32 s6, s4, 1
	s_cmp_ge_u32 s5, s7
	v_or_b32_e32 v106, 12, v86
	s_wait_alu 0xfffe
	s_cselect_b32 s8, s6, s4
	s_load_b128 s[4:7], s[0:1], 0x0
	s_xor_b32 s8, s8, s11
	s_sub_co_i32 s59, s9, s10
	s_wait_alu 0xfffe
	s_sub_co_i32 s58, s8, s11
	v_mad_u32_u24 v100, 0x104, v150, v100
	s_mul_i32 s2, s58, s2
	v_lshl_add_u32 v84, s58, 7, v93
	s_sub_co_i32 s2, s3, s2
	v_lshlrev_b32_e32 v93, 2, v152
	s_add_co_i32 s59, s59, s2
	s_clause 0x2
	s_load_b32 s2, s[0:1], 0x74
	s_load_b32 s71, s[0:1], 0x80
	;; [unrolled: 1-line block ×3, first 2 shown]
	v_lshl_add_u32 v8, s59, 6, v85
	s_clause 0x2
	s_load_b32 s22, s[0:1], 0x2c
	s_load_b32 s72, s[0:1], 0x38
	s_load_b32 s3, s[0:1], 0x40
	v_and_or_b32 v101, 0xc0, v0, v93
	v_lshl_or_b32 v93, v95, 1, v93
	v_or_b32_e32 v95, 2, v86
	v_or_b32_e32 v96, 3, v84
	;; [unrolled: 1-line block ×3, first 2 shown]
	v_dual_mov_b32 v23, v41 :: v_dual_add_nc_u32 v116, v100, v97
	s_wait_kmcnt 0x0
	s_and_b32 s65, s5, 0xffff
	s_load_b32 s5, s[0:1], 0xa0
	v_mul_lo_u32 v7, v8, s21
	s_mov_b32 s64, s4
	v_mul_lo_u32 v83, v84, s23
	s_mov_b32 s61, s65
	v_mad_u32_u24 v129, 0x204, v94, v93
	v_or_b32_e32 v94, 2, v84
	v_cmp_gt_i32_e32 vcc_lo, s2, v84
	v_cmp_gt_i32_e64 s11, s71, v95
	v_add_nc_u32_e32 v1, v7, v86
	s_lshl_b32 s66, s8, 1
	v_cmp_gt_i32_e64 s14, s72, v95
	s_mov_b32 s62, s66
	v_or_b32_e32 v95, 1, v84
	v_lshlrev_b32_e32 v2, 1, v1
	s_clause 0x1
	buffer_load_b128 v[33:36], v2, s[64:67], null offen
	buffer_load_b96 v[59:61], v2, s[64:67], null offen offset:16
	v_add_lshl_u32 v2, v1, s21, 1
	v_add_nc_u32_e32 v1, 14, v1
	v_cmp_gt_i32_e64 s18, s72, v102
	v_mul_lo_u32 v84, s23, v96
	v_cmp_gt_i32_e64 s20, s72, v86
	buffer_load_b32 v71, v2, s[64:67], null offen
	v_add_lshl_u32 v2, v1, s21, 1
	v_lshlrev_b32_e32 v1, 1, v1
	s_clause 0x1
	buffer_load_b32 v72, v2, s[64:67], null offen
	buffer_load_b32 v70, v1, s[64:67], null offen
	v_subrev_nc_u32_e32 v1, 20, v2
	v_add_nc_u32_e32 v3, -12, v2
	v_add_nc_u32_e32 v4, -16, v2
	v_cmp_gt_i32_e64 s15, s72, v103
	v_cmp_gt_i32_e64 s17, s72, v104
	s_clause 0x1
	buffer_load_b32 v75, v1, s[64:67], null offen
	buffer_load_b32 v74, v3, s[64:67], null offen
	v_add_nc_u32_e32 v1, -4, v2
	v_add_nc_u32_e32 v3, -8, v2
	v_cmp_gt_i32_e64 s13, s72, v105
	v_cmp_gt_i32_e64 s16, s72, v106
	s_mov_b32 s60, s4
	buffer_load_b32 v73, v1, s[64:67], null offen
	v_subrev_nc_u32_e32 v1, 24, v2
	v_add_nc_u32_e32 v2, v83, v86
	s_clause 0x2
	buffer_load_b32 v67, v3, s[64:67], null offen
	buffer_load_b32 v68, v4, s[64:67], null offen
	buffer_load_b32 v69, v1, s[64:67], null offen
	s_wait_kmcnt 0x0
	s_lshl_b32 s66, s5, 1
	s_and_b32 s65, s7, 0xffff
	v_add_nc_u32_e32 v3, s23, v2
	v_lshlrev_b32_e32 v1, 1, v2
	s_mov_b32 s64, s6
	s_clause 0x3
	s_load_b32 s69, s[0:1], 0xb0
	s_load_b32 s68, s[0:1], 0xbc
	;; [unrolled: 1-line block ×3, first 2 shown]
	s_load_b64 s[54:55], s[0:1], 0xf0
	s_ashr_i32 s0, s3, 31
	v_add_nc_u32_e32 v4, s23, v3
	buffer_load_b128 v[37:40], v1, s[64:67], null offen
	v_lshlrev_b32_e32 v3, 1, v3
	s_lshr_b32 s0, s0, 27
	v_cmp_gt_i32_e64 s1, s2, v95
	v_lshlrev_b32_e32 v5, 1, v4
	s_clause 0x1
	buffer_load_b128 v[49:52], v5, s[64:67], null offen
	buffer_load_b96 v[56:58], v1, s[64:67], null offen offset:16
	v_add_nc_u32_e32 v1, 14, v2
	buffer_load_b96 v[53:55], v5, s[64:67], null offen offset:16
	s_add_co_i32 s3, s3, s0
	v_or_b32_e32 v95, 1, v8
	s_wait_alu 0xfffe
	s_ashr_i32 s0, s3, 5
	v_add_lshl_u32 v2, v1, s23, 1
	v_lshlrev_b32_e32 v1, 1, v1
	v_cmp_gt_i32_e64 s3, s22, v8
	s_max_i32 s44, s0, 2
	v_cmp_gt_i32_e64 s0, s2, v94
	v_subrev_nc_u32_e32 v5, 24, v2
	v_add_nc_u32_e32 v6, -8, v2
	v_add_nc_u32_e32 v9, -16, v2
	v_mul_lo_u32 v94, s23, v94
	v_add_lshl_u32 v158, v83, s23, 1
	buffer_load_b32 v66, v5, s[64:67], null offen
	v_add_nc_u32_e32 v5, 14, v4
	s_clause 0x3
	buffer_load_b32 v65, v6, s[64:67], null offen
	buffer_load_b32 v64, v9, s[64:67], null offen
	;; [unrolled: 1-line block ×4, first 2 shown]
	v_mov_b32_e32 v6, v41
	v_cmp_gt_i32_e64 s4, s22, v95
	v_lshlrev_b32_e32 v1, 1, v5
	v_add_lshl_u32 v5, v5, s23, 1
	s_clause 0x1
	buffer_load_b32 v81, v1, s[64:67], null offen
	buffer_load_b32 v77, v5, s[64:67], null offen
	v_subrev_nc_u32_e32 v1, 20, v2
	buffer_load_b32 v80, v3, s[64:67], null offen
	v_add_lshl_u32 v161, v7, s21, 1
	s_and_b32 s21, s20, s3
	s_and_b32 s22, s14, s3
	buffer_load_b32 v82, v1, s[64:67], null offen
	v_add_nc_u32_e32 v3, -12, v2
	v_add_nc_u32_e32 v1, -4, v2
	v_subrev_nc_u32_e32 v2, 24, v5
	s_and_b32 s24, s15, s3
	v_lshlrev_b32_e32 v157, 1, v83
	s_clause 0x2
	buffer_load_b32 v79, v3, s[64:67], null offen
	buffer_load_b32 v76, v1, s[64:67], null offen
	;; [unrolled: 1-line block ×3, first 2 shown]
	v_add_nc_u32_e32 v1, -16, v5
	v_add_nc_u32_e32 v3, -8, v5
	v_add_lshl_u32 v2, v4, s23, 1
	s_clause 0x1
	buffer_load_b32 v88, v1, s[64:67], null offen
	buffer_load_b32 v87, v3, s[64:67], null offen
	v_subrev_nc_u32_e32 v1, 20, v5
	v_add_nc_u32_e32 v3, -4, v5
	s_clause 0x1
	buffer_load_b32 v91, v2, s[64:67], null offen
	buffer_load_b32 v89, v1, s[64:67], null offen
	v_add_nc_u32_e32 v1, -12, v5
	s_clause 0x1
	buffer_load_b32 v92, v3, s[64:67], null offen
	buffer_load_b32 v90, v1, s[64:67], null offen
	s_and_b32 s23, s18, s3
	s_and_b32 s25, s17, s3
	s_and_b32 s26, s13, s3
	v_lshlrev_b32_e32 v159, 1, v84
	v_lshlrev_b32_e32 v162, 1, v7
	s_and_b32 s27, s16, s3
	v_lshlrev_b32_e32 v160, 1, v94
	v_cmp_gt_i32_e64 s2, s2, v96
	s_and_b32 s20, s20, s4
	v_cmp_gt_i32_e64 s19, s72, v107
	v_add_nc_u32_e32 v128, v101, v98
	v_cmp_gt_i32_e64 s5, s71, v86
	v_cmp_gt_i32_e64 s7, s71, v102
	;; [unrolled: 1-line block ×7, first 2 shown]
	s_and_b32 s18, s18, s4
	v_mad_u32_u24 v85, 0x104, v150, v99
	s_and_b32 s17, s17, s4
	s_and_b32 s28, s10, vcc_lo
	s_and_b32 s30, s6, s0
	s_and_b32 s31, s10, s0
	;; [unrolled: 1-line block ×4, first 2 shown]
	s_and_b32 s29, s8, vcc_lo
	s_and_b32 s38, s12, s1
	s_and_b32 s39, s12, s0
	;; [unrolled: 1-line block ×8, first 2 shown]
	s_and_b32 s37, s12, vcc_lo
	s_and_b32 s40, s5, s1
	s_and_b32 s41, s7, s1
	s_and_b32 s10, s10, s2
	s_and_b32 s12, s12, s2
	s_and_b32 s42, s6, s1
	s_and_b32 s43, s8, s1
	s_and_b32 s8, s8, s2
	v_mov_b32_e32 v21, v41
	v_or_b32_e32 v114, 64, v86
	v_dual_mov_b32 v11, v41 :: v_dual_add_nc_u32 v86, 0x514, v85
	v_dual_mov_b32 v13, v41 :: v_dual_add_nc_u32 v120, 0x2800, v129
	;; [unrolled: 1-line block ×4, first 2 shown]
	v_add_nc_u32_e32 v126, 0x3800, v129
	v_dual_mov_b32 v2, v41 :: v_dual_mov_b32 v3, v41
	v_add_nc_u32_e32 v130, 0x3000, v129
	v_dual_mov_b32 v4, v41 :: v_dual_mov_b32 v5, v41
	v_add_nc_u32_e32 v132, 0x1000, v128
	v_add_nc_u32_e32 v93, 0x71c, v85
	;; [unrolled: 1-line block ×29, first 2 shown]
	s_wait_kmcnt 0x0
	s_add_co_i32 s55, s44, -1
	s_wait_loadcnt 0x20
	v_lshrrev_b32_e32 v8, 16, v33
	s_wait_alu 0xfffe
	v_cndmask_b32_e64 v83, 0, v35, s23
	v_lshrrev_b32_e32 v35, 16, v35
	v_cndmask_b32_e64 v7, 0, v33, s21
	v_cndmask_b32_e64 v33, 0, v34, s22
	v_lshrrev_b32_e32 v34, 16, v34
	v_cndmask_b32_e64 v84, 0, v36, s24
	s_wait_loadcnt 0x1e
	v_lshrrev_b32_e32 v97, 16, v71
	v_lshrrev_b32_e32 v36, 16, v36
	v_cndmask_b32_e64 v94, 0, v59, s25
	v_lshrrev_b32_e32 v59, 16, v59
	v_cndmask_b32_e64 v95, 0, v60, s26
	;; [unrolled: 2-line block ×4, first 2 shown]
	v_cndmask_b32_e64 v98, 0, v8, s21
	v_cndmask_b32_e64 v8, 0, v97, s20
	;; [unrolled: 1-line block ×5, first 2 shown]
	s_wait_loadcnt 0x1d
	v_lshrrev_b32_e32 v100, 16, v72
	s_wait_loadcnt 0x1c
	v_lshrrev_b32_e32 v101, 16, v70
	v_cndmask_b32_e64 v97, 0, v59, s25
	v_cndmask_b32_e64 v60, 0, v60, s26
	;; [unrolled: 1-line block ×3, first 2 shown]
	s_and_b32 s20, s19, s4
	s_and_b32 s19, s19, s3
	s_wait_loadcnt 0x1b
	v_cndmask_b32_e64 v103, 0, v75, s18
	v_lshrrev_b32_e32 v75, 16, v75
	v_perm_b32 v8, v8, v71, 0x5040100
	v_perm_b32 v59, v35, v83, 0x5040100
	s_wait_loadcnt 0x1a
	v_lshrrev_b32_e32 v35, 16, v74
	v_cndmask_b32_e64 v71, 0, v74, s17
	s_wait_loadcnt 0x19
	v_lshrrev_b32_e32 v74, 16, v73
	s_wait_alu 0xfffe
	v_cndmask_b32_e64 v72, 0, v72, s20
	v_cndmask_b32_e64 v102, 0, v70, s19
	v_perm_b32 v83, v34, v33, 0x5040100
	v_perm_b32 v84, v36, v84, 0x5040100
	v_cndmask_b32_e64 v33, 0, v100, s20
	v_cndmask_b32_e64 v34, 0, v101, s19
	s_wait_loadcnt 0x16
	v_lshrrev_b32_e32 v36, 16, v69
	s_and_b32 s19, s5, vcc_lo
	s_and_b32 s20, s11, vcc_lo
	;; [unrolled: 1-line block ×4, first 2 shown]
	s_and_b32 s23, s5, s0
	s_and_b32 s24, s11, s0
	;; [unrolled: 1-line block ×3, first 2 shown]
	s_and_b32 s27, s6, vcc_lo
	v_perm_b32 v61, v97, v94, 0x5040100
	v_perm_b32 v94, v60, v95, 0x5040100
	v_lshrrev_b32_e32 v60, 16, v68
	s_and_b32 s25, s7, s0
	v_perm_b32 v7, v98, v7, 0x5040100
	v_perm_b32 v70, v99, v96, 0x5040100
	v_lshrrev_b32_e32 v95, 16, v67
	s_wait_loadcnt 0x15
	s_wait_alu 0xfffe
	v_cndmask_b32_e64 v96, 0, v37, s19
	v_lshrrev_b32_e32 v37, 16, v37
	v_cndmask_b32_e64 v97, 0, v38, s20
	v_lshrrev_b32_e32 v38, 16, v38
	;; [unrolled: 2-line block ×4, first 2 shown]
	s_wait_loadcnt 0x14
	v_cndmask_b32_e64 v100, 0, v49, s23
	v_lshrrev_b32_e32 v49, 16, v49
	v_cndmask_b32_e64 v101, 0, v50, s24
	v_lshrrev_b32_e32 v50, 16, v50
	;; [unrolled: 2-line block ×3, first 2 shown]
	s_wait_loadcnt 0x13
	v_cndmask_b32_e64 v106, 0, v56, s27
	v_lshrrev_b32_e32 v56, 16, v56
	v_cndmask_b32_e64 v107, 0, v57, s28
	v_lshrrev_b32_e32 v57, 16, v57
	s_wait_loadcnt 0x12
	v_cndmask_b32_e64 v109, 0, v53, s30
	v_lshrrev_b32_e32 v53, 16, v53
	v_cndmask_b32_e64 v110, 0, v54, s31
	v_lshrrev_b32_e32 v54, 16, v54
	;; [unrolled: 2-line block ×3, first 2 shown]
	s_wait_loadcnt 0x11
	v_lshrrev_b32_e32 v112, 16, v66
	s_wait_loadcnt 0x10
	v_cndmask_b32_e64 v163, 0, v65, s35
	s_wait_loadcnt 0xf
	v_lshrrev_b32_e32 v164, 16, v64
	v_lshrrev_b32_e32 v65, 16, v65
	s_wait_loadcnt 0xe
	v_lshrrev_b32_e32 v165, 16, v63
	s_wait_loadcnt 0xa
	;; [unrolled: 2-line block ×3, first 2 shown]
	v_lshrrev_b32_e32 v170, 16, v82
	v_cndmask_b32_e64 v104, 0, v51, s25
	s_wait_loadcnt 0x6
	v_lshrrev_b32_e32 v173, 16, v78
	v_lshrrev_b32_e32 v51, 16, v51
	v_cndmask_b32_e64 v108, 0, v58, s29
	v_lshrrev_b32_e32 v58, 16, v58
	v_lshrrev_b32_e32 v166, 16, v62
	s_wait_loadcnt 0x5
	v_lshrrev_b32_e32 v174, 16, v88
	s_wait_loadcnt 0x4
	v_lshrrev_b32_e32 v175, 16, v87
	v_cndmask_b32_e64 v167, 0, v62, s38
	v_cndmask_b32_e64 v168, 0, v81, s39
	v_lshrrev_b32_e32 v62, 16, v77
	s_wait_loadcnt 0x3
	v_lshrrev_b32_e32 v176, 16, v91
	s_wait_loadcnt 0x2
	v_lshrrev_b32_e32 v177, 16, v89
	v_lshrrev_b32_e32 v81, 16, v81
	;; [unrolled: 1-line block ×3, first 2 shown]
	v_cndmask_b32_e64 v75, 0, v75, s18
	v_cndmask_b32_e64 v73, 0, v73, s16
	s_wait_loadcnt 0x0
	v_lshrrev_b32_e32 v179, 16, v90
	v_lshrrev_b32_e32 v172, 16, v76
	v_cndmask_b32_e64 v35, 0, v35, s17
	v_cndmask_b32_e64 v74, 0, v74, s16
	;; [unrolled: 1-line block ×3, first 2 shown]
	s_and_b32 s11, s11, s2
	s_and_b32 s9, s9, s2
	;; [unrolled: 1-line block ×4, first 2 shown]
	v_lshrrev_b32_e32 v178, 16, v92
	v_perm_b32 v72, v33, v72, 0x5040100
	v_cndmask_b32_e64 v33, 0, v36, s14
	v_cndmask_b32_e64 v68, 0, v68, s15
	s_and_b32 s6, s6, s2
	v_perm_b32 v102, v34, v102, 0x5040100
	v_cndmask_b32_e64 v34, 0, v60, s15
	v_cndmask_b32_e64 v67, 0, v67, s13
	v_cndmask_b32_e64 v66, 0, v66, s34
	v_cndmask_b32_e64 v64, 0, v64, s36
	v_cndmask_b32_e64 v63, 0, v63, s37
	v_cndmask_b32_e64 v80, 0, v80, s40
	v_cndmask_b32_e64 v82, 0, v82, s41
	s_wait_alu 0xfffe
	v_cndmask_b32_e64 v78, 0, v78, s11
	v_cndmask_b32_e64 v88, 0, v88, s9
	v_cndmask_b32_e64 v87, 0, v87, s10
	v_cndmask_b32_e64 v91, 0, v91, s5
	v_cndmask_b32_e64 v89, 0, v89, s7
	v_cndmask_b32_e64 v36, 0, v95, s13
	v_cndmask_b32_e64 v38, 0, v38, s20
	v_cndmask_b32_e64 v50, 0, v50, s24
	v_cndmask_b32_e64 v95, 0, v112, s34
	v_cndmask_b32_e64 v40, 0, v40, s22
	v_cndmask_b32_e64 v112, 0, v164, s36
	v_cndmask_b32_e64 v57, 0, v57, s28
	v_cndmask_b32_e64 v54, 0, v54, s31
	v_cndmask_b32_e64 v65, 0, v65, s35
	v_cndmask_b32_e64 v165, 0, v165, s37
	v_cndmask_b32_e64 v52, 0, v52, s26
	v_cndmask_b32_e64 v180, 0, v37, s19
	v_cndmask_b32_e64 v169, 0, v169, s40
	v_cndmask_b32_e64 v181, 0, v49, s23
	v_cndmask_b32_e64 v182, 0, v39, s21
	v_cndmask_b32_e64 v170, 0, v170, s41
	v_cndmask_b32_e64 v56, 0, v56, s27
	v_cndmask_b32_e64 v53, 0, v53, s30
	v_cndmask_b32_e64 v55, 0, v55, s33
	v_cndmask_b32_e64 v173, 0, v173, s11
	v_cndmask_b32_e64 v174, 0, v174, s9
	v_cndmask_b32_e64 v175, 0, v175, s10
	v_cndmask_b32_e64 v176, 0, v176, s5
	v_cndmask_b32_e64 v177, 0, v177, s7
	v_cndmask_b32_e64 v77, 0, v77, s12
	v_cndmask_b32_e64 v79, 0, v79, s42
	v_cndmask_b32_e64 v90, 0, v90, s6
	v_cndmask_b32_e64 v164, 0, v166, s38
	v_cndmask_b32_e64 v166, 0, v62, s12
	v_cndmask_b32_e64 v81, 0, v81, s39
	v_cndmask_b32_e64 v183, 0, v51, s25
	v_cndmask_b32_e64 v171, 0, v171, s42
	v_cndmask_b32_e64 v58, 0, v58, s29
	v_cndmask_b32_e64 v179, 0, v179, s6
	v_perm_b32 v60, v75, v103, 0x5040100
	v_cndmask_b32_e64 v76, 0, v76, s43
	v_cndmask_b32_e64 v172, 0, v172, s43
	v_perm_b32 v62, v35, v71, 0x5040100
	v_perm_b32 v71, v74, v73, 0x5040100
	v_cndmask_b32_e64 v92, 0, v92, s8
	v_cndmask_b32_e64 v178, 0, v178, s8
	v_perm_b32 v69, v33, v69, 0x5040100
	v_perm_b32 v73, v34, v68, 0x5040100
	;; [unrolled: 1-line block ×33, first 2 shown]
	ds_store_2addr_b64 v85, v[7:8], v[59:60] offset1:65
	ds_store_2addr_b64 v85, v[61:62], v[70:71] offset0:130 offset1:195
	ds_store_2addr_b32 v85, v83, v69 offset0:65 offset1:66
	ds_store_2addr_b32 v85, v84, v73 offset0:195 offset1:196
	ds_store_2addr_b32 v86, v94, v74 offset1:1
	ds_store_2addr_b32 v93, v102, v72 offset1:1
	;; [unrolled: 1-line block ×6, first 2 shown]
	ds_store_2addr_b64 v148, v[49:50], v[51:52] offset1:1
	ds_store_2addr_b32 v149, v56, v79 offset1:1
	ds_store_b128 v116, v[33:36] offset:8832
	ds_store_b128 v116, v[37:40] offset:10896
	v_dual_mov_b32 v7, v41 :: v_dual_mov_b32 v8, v41
	v_dual_mov_b32 v33, v41 :: v_dual_mov_b32 v34, v41
	;; [unrolled: 1-line block ×11, first 2 shown]
	v_dual_mov_b32 v9, v41 :: v_dual_add_nc_u32 v118, 0x71c, v115
	v_dual_mov_b32 v64, v41 :: v_dual_add_nc_u32 v117, 0x514, v115
	v_dual_mov_b32 v61, v41 :: v_dual_mov_b32 v62, v41
	v_mov_b32_e32 v63, v41
	v_perm_b32 v76, v172, v76, 0x5040100
	v_perm_b32 v87, v178, v92, 0x5040100
	ds_store_2addr_b32 v153, v80, v78 offset1:1
	ds_store_2addr_b32 v154, v81, v76 offset1:1
	;; [unrolled: 1-line block ×3, first 2 shown]
	ds_store_2addr_b64 v156, v[65:66], v[67:68] offset1:1
.LBB1_1:                                ; =>This Inner Loop Header: Depth=1
	v_add_nc_u32_e32 v65, v113, v162
	v_add_nc_u32_e32 v69, 8, v114
	;; [unrolled: 1-line block ×5, first 2 shown]
	s_clause 0x1
	buffer_load_b128 v[105:108], v65, s[60:63], null offen offset:128
	buffer_load_b128 v[101:104], v65, s[60:63], null offen offset:144
	v_add_nc_u32_e32 v65, v113, v161
	v_cmp_gt_i32_e64 s9, s72, v69
	v_add_nc_u32_e32 v70, 10, v114
	v_add_nc_u32_e32 v71, 12, v114
	s_clause 0x1
	buffer_load_b128 v[97:100], v65, s[60:63], null offen offset:128
	buffer_load_b128 v[109:112], v65, s[60:63], null offen offset:144
	v_add_nc_u32_e32 v65, v113, v157
	v_add_nc_u32_e32 v72, 14, v114
	s_wait_dscnt 0x0
	s_barrier_signal -1
	s_barrier_wait -1
	s_clause 0x1
	buffer_load_b128 v[93:96], v65, s[64:67], null offen offset:128
	buffer_load_b128 v[89:92], v65, s[64:67], null offen offset:144
	v_add_nc_u32_e32 v65, v113, v158
	v_cmp_gt_i32_e64 s6, s72, v66
	v_cmp_gt_i32_e64 s7, s72, v67
	;; [unrolled: 1-line block ×3, first 2 shown]
	s_and_b32 s42, s3, s9
	v_cmp_gt_i32_e64 s10, s72, v70
	v_cmp_gt_i32_e64 s11, s72, v71
	v_cmp_gt_i32_e64 s12, s72, v72
	s_and_b32 s50, s4, s9
	v_cmp_gt_i32_e64 s9, s71, v69
	s_clause 0x1
	buffer_load_b128 v[85:88], v65, s[64:67], null offen offset:144
	buffer_load_b128 v[77:80], v65, s[64:67], null offen offset:128
	v_add_nc_u32_e32 v65, v113, v160
	v_add_nc_u32_e32 v69, v113, v159
	s_and_b32 s46, s3, s6
	s_and_b32 s40, s3, s7
	;; [unrolled: 1-line block ×12, first 2 shown]
	v_cmp_gt_i32_e64 s6, s71, v66
	v_cmp_gt_i32_e64 s7, s71, v67
	;; [unrolled: 1-line block ×6, first 2 shown]
	s_clause 0x3
	buffer_load_b128 v[81:84], v65, s[64:67], null offen offset:128
	buffer_load_b128 v[73:76], v65, s[64:67], null offen offset:144
	;; [unrolled: 1-line block ×4, first 2 shown]
	ds_load_2addr_b32 v[186:187], v128 offset1:32
	ds_load_2addr_b32 v[163:164], v128 offset0:130 offset1:162
	ds_load_2addr_b32 v[188:189], v119 offset0:4 offset1:36
	;; [unrolled: 1-line block ×7, first 2 shown]
	v_cmp_gt_i32_e64 s5, s72, v114
	s_and_b32 s34, vcc_lo, s8
	s_and_b32 s24, s1, s8
	s_and_b32 s19, s0, s8
	;; [unrolled: 1-line block ×5, first 2 shown]
	v_cmp_gt_i32_e64 s5, s71, v114
	s_and_b32 s35, vcc_lo, s7
	s_and_b32 s22, s1, s7
	s_and_b32 s21, s0, s7
	;; [unrolled: 1-line block ×3, first 2 shown]
	s_and_b32 s38, vcc_lo, s5
	s_and_b32 s18, s1, s5
	s_and_b32 s17, s0, s5
	s_wait_dscnt 0x7
	v_mov_b32_e32 v167, v186
	s_wait_dscnt 0x2
	v_dual_mov_b32 v177, v178 :: v_dual_mov_b32 v176, v171
	s_wait_dscnt 0x0
	v_dual_mov_b32 v175, v180 :: v_dual_mov_b32 v178, v173
	v_mov_b32_e32 v171, v181
	v_mov_b32_e32 v173, v179
	ds_load_2addr_b32 v[190:191], v120 offset0:99 offset1:131
	ds_load_2addr_b32 v[179:180], v121 offset0:97 offset1:129
	;; [unrolled: 1-line block ×4, first 2 shown]
	v_dual_mov_b32 v168, v163 :: v_dual_mov_b32 v169, v188
	v_dual_mov_b32 v170, v165 :: v_dual_mov_b32 v163, v187
	v_mov_b32_e32 v165, v189
	s_and_b32 s5, s2, s5
	s_and_b32 s37, vcc_lo, s6
	s_delay_alu instid0(VALU_DEP_2)
	v_wmma_f32_16x16x16_bf16 v[41:48], v[167:170], v[175:178], v[41:48]
	s_and_b32 s20, s1, s6
	v_wmma_f32_16x16x16_bf16 v[1:8], v[163:166], v[175:178], v[1:8]
	v_add_nc_u32_e32 v162, 0x80, v162
	s_and_b32 s23, s0, s6
	s_and_b32 s6, s2, s6
	s_and_b32 s33, vcc_lo, s9
	s_and_b32 s25, s1, s9
	s_and_b32 s16, s0, s9
	s_wait_dscnt 0x2
	v_dual_mov_b32 v185, v190 :: v_dual_mov_b32 v184, v179
	s_wait_dscnt 0x0
	v_dual_mov_b32 v183, v192 :: v_dual_mov_b32 v186, v181
	v_mov_b32_e32 v179, v193
	v_mov_b32_e32 v181, v191
	v_wmma_f32_16x16x16_bf16 v[25:32], v[167:170], v[171:174], v[25:32]
	v_wmma_f32_16x16x16_bf16 v[33:40], v[163:166], v[171:174], v[33:40]
	v_wmma_f32_16x16x16_bf16 v[17:24], v[167:170], v[183:186], v[17:24]
	v_wmma_f32_16x16x16_bf16 v[49:56], v[163:166], v[183:186], v[49:56]
	v_wmma_f32_16x16x16_bf16 v[9:16], v[167:170], v[179:182], v[9:16]
	v_wmma_f32_16x16x16_bf16 v[57:64], v[163:166], v[179:182], v[57:64]
	ds_load_2addr_b32 v[186:187], v124 offset0:8 offset1:40
	ds_load_2addr_b32 v[163:164], v124 offset0:138 offset1:170
	;; [unrolled: 1-line block ×8, first 2 shown]
	v_add_nc_u32_e32 v114, 64, v114
	v_add_nc_u32_e32 v158, 0x80, v158
	;; [unrolled: 1-line block ×3, first 2 shown]
	s_and_b32 s9, s2, s9
	s_and_b32 s31, vcc_lo, s10
	s_and_b32 s26, s1, s10
	s_and_b32 s15, s0, s10
	s_and_b32 s10, s2, s10
	s_and_b32 s30, vcc_lo, s11
	s_and_b32 s27, s1, s11
	s_and_b32 s14, s0, s11
	;; [unrolled: 4-line block ×3, first 2 shown]
	s_wait_dscnt 0x7
	v_mov_b32_e32 v167, v186
	s_wait_dscnt 0x2
	v_dual_mov_b32 v177, v178 :: v_dual_mov_b32 v176, v171
	s_wait_dscnt 0x0
	v_dual_mov_b32 v175, v180 :: v_dual_mov_b32 v178, v173
	v_mov_b32_e32 v171, v181
	v_mov_b32_e32 v173, v179
	ds_load_2addr_b32 v[190:191], v126 offset0:107 offset1:139
	ds_load_2addr_b32 v[179:180], v127 offset0:105 offset1:137
	;; [unrolled: 1-line block ×4, first 2 shown]
	v_dual_mov_b32 v168, v163 :: v_dual_mov_b32 v169, v188
	v_dual_mov_b32 v170, v165 :: v_dual_mov_b32 v163, v187
	v_mov_b32_e32 v165, v189
	s_and_b32 s12, s2, s12
	v_add_nc_u32_e32 v157, 0x80, v157
	s_delay_alu instid0(VALU_DEP_3)
	v_wmma_f32_16x16x16_bf16 v[41:48], v[167:170], v[175:178], v[41:48]
	v_wmma_f32_16x16x16_bf16 v[25:32], v[167:170], v[171:174], v[25:32]
	v_wmma_f32_16x16x16_bf16 v[1:8], v[163:166], v[175:178], v[1:8]
	v_wmma_f32_16x16x16_bf16 v[33:40], v[163:166], v[171:174], v[33:40]
	v_add_nc_u32_e32 v159, 0x80, v159
	v_add_nc_u32_e32 v161, 0x80, v161
	s_add_co_i32 s55, s55, -1
	s_delay_alu instid0(SALU_CYCLE_1)
	s_cmp_lg_u32 s55, 0
	s_wait_dscnt 0x2
	v_dual_mov_b32 v185, v190 :: v_dual_mov_b32 v184, v179
	s_wait_dscnt 0x0
	v_dual_mov_b32 v183, v192 :: v_dual_mov_b32 v186, v181
	v_mov_b32_e32 v179, v193
	v_mov_b32_e32 v181, v191
	s_delay_alu instid0(VALU_DEP_3) | instskip(SKIP_1) | instid1(VALU_DEP_3)
	v_wmma_f32_16x16x16_bf16 v[17:24], v[167:170], v[183:186], v[17:24]
	v_wmma_f32_16x16x16_bf16 v[49:56], v[163:166], v[183:186], v[49:56]
	;; [unrolled: 1-line block ×4, first 2 shown]
	ds_load_2addr_b32 v[186:187], v132 offset0:16 offset1:48
	ds_load_2addr_b32 v[163:164], v132 offset0:146 offset1:178
	;; [unrolled: 1-line block ×8, first 2 shown]
	s_wait_dscnt 0x7
	v_mov_b32_e32 v167, v186
	s_wait_dscnt 0x2
	v_dual_mov_b32 v177, v178 :: v_dual_mov_b32 v176, v171
	s_wait_dscnt 0x0
	v_dual_mov_b32 v175, v180 :: v_dual_mov_b32 v178, v173
	v_mov_b32_e32 v171, v181
	v_mov_b32_e32 v173, v179
	ds_load_2addr_b32 v[190:191], v134 offset0:115 offset1:147
	ds_load_2addr_b32 v[179:180], v135 offset0:113 offset1:145
	;; [unrolled: 1-line block ×4, first 2 shown]
	v_dual_mov_b32 v168, v163 :: v_dual_mov_b32 v169, v188
	v_dual_mov_b32 v170, v165 :: v_dual_mov_b32 v163, v187
	v_mov_b32_e32 v165, v189
	s_delay_alu instid0(VALU_DEP_2) | instskip(SKIP_1) | instid1(VALU_DEP_3)
	v_wmma_f32_16x16x16_bf16 v[41:48], v[167:170], v[175:178], v[41:48]
	v_wmma_f32_16x16x16_bf16 v[25:32], v[167:170], v[171:174], v[25:32]
	;; [unrolled: 1-line block ×4, first 2 shown]
	s_wait_dscnt 0x2
	v_dual_mov_b32 v185, v190 :: v_dual_mov_b32 v184, v179
	s_wait_dscnt 0x0
	v_dual_mov_b32 v183, v192 :: v_dual_mov_b32 v186, v181
	v_mov_b32_e32 v179, v193
	v_mov_b32_e32 v181, v191
	s_delay_alu instid0(VALU_DEP_3) | instskip(SKIP_1) | instid1(VALU_DEP_3)
	v_wmma_f32_16x16x16_bf16 v[17:24], v[167:170], v[183:186], v[17:24]
	v_wmma_f32_16x16x16_bf16 v[49:56], v[163:166], v[183:186], v[49:56]
	;; [unrolled: 1-line block ×4, first 2 shown]
	ds_load_2addr_b32 v[186:187], v138 offset0:24 offset1:56
	ds_load_2addr_b32 v[163:164], v138 offset0:154 offset1:186
	;; [unrolled: 1-line block ×8, first 2 shown]
	s_wait_dscnt 0x7
	v_mov_b32_e32 v167, v186
	s_wait_dscnt 0x2
	v_dual_mov_b32 v177, v178 :: v_dual_mov_b32 v176, v171
	s_wait_dscnt 0x0
	v_dual_mov_b32 v175, v180 :: v_dual_mov_b32 v178, v173
	v_mov_b32_e32 v171, v181
	v_mov_b32_e32 v173, v179
	ds_load_2addr_b32 v[190:191], v140 offset0:123 offset1:155
	ds_load_2addr_b32 v[179:180], v141 offset0:121 offset1:153
	;; [unrolled: 1-line block ×4, first 2 shown]
	v_dual_mov_b32 v168, v163 :: v_dual_mov_b32 v169, v188
	v_dual_mov_b32 v170, v165 :: v_dual_mov_b32 v163, v187
	v_mov_b32_e32 v165, v189
	s_wait_dscnt 0x0
	s_barrier_signal -1
	s_delay_alu instid0(VALU_DEP_2)
	v_wmma_f32_16x16x16_bf16 v[41:48], v[167:170], v[175:178], v[41:48]
	v_wmma_f32_16x16x16_bf16 v[25:32], v[167:170], v[171:174], v[25:32]
	;; [unrolled: 1-line block ×4, first 2 shown]
	s_barrier_wait -1
	v_dual_mov_b32 v185, v190 :: v_dual_mov_b32 v184, v179
	v_dual_mov_b32 v183, v192 :: v_dual_mov_b32 v186, v181
	v_mov_b32_e32 v179, v193
	v_mov_b32_e32 v181, v191
	s_delay_alu instid0(VALU_DEP_3) | instskip(SKIP_1) | instid1(VALU_DEP_3)
	v_wmma_f32_16x16x16_bf16 v[49:56], v[163:166], v[183:186], v[49:56]
	v_wmma_f32_16x16x16_bf16 v[17:24], v[167:170], v[183:186], v[17:24]
	;; [unrolled: 1-line block ×4, first 2 shown]
	s_wait_loadcnt 0xb
	s_wait_alu 0xfffe
	v_cndmask_b32_e64 v163, 0, v105, s36
	v_lshrrev_b32_e32 v105, 16, v105
	v_cndmask_b32_e64 v165, 0, v107, s40
	v_lshrrev_b32_e32 v107, 16, v107
	v_cndmask_b32_e64 v164, 0, v106, s46
	v_lshrrev_b32_e32 v106, 16, v106
	s_wait_loadcnt 0x9
	v_cndmask_b32_e64 v175, 0, v100, s49
	v_lshrrev_b32_e32 v100, 16, v100
	v_cndmask_b32_e64 v177, 0, v98, s47
	v_lshrrev_b32_e32 v98, 16, v98
	v_cndmask_b32_e64 v105, 0, v105, s36
	v_cndmask_b32_e64 v107, 0, v107, s40
	;; [unrolled: 1-line block ×4, first 2 shown]
	v_lshrrev_b32_e32 v99, 16, v99
	v_cndmask_b32_e64 v178, 0, v98, s47
	v_cndmask_b32_e64 v98, 0, v97, s39
	v_lshrrev_b32_e32 v97, 16, v97
	v_cndmask_b32_e64 v166, 0, v108, s41
	v_cndmask_b32_e64 v99, 0, v99, s48
	;; [unrolled: 3-line block ×3, first 2 shown]
	v_lshrrev_b32_e32 v102, 16, v102
	v_perm_b32 v100, v99, v100, 0x5040100
	v_perm_b32 v99, v107, v165, 0x5040100
	s_wait_loadcnt 0x8
	v_cndmask_b32_e64 v173, 0, v110, s51
	v_perm_b32 v98, v97, v98, 0x5040100
	v_perm_b32 v97, v105, v163, 0x5040100
	v_lshrrev_b32_e32 v110, 16, v110
	v_cndmask_b32_e64 v106, 0, v106, s46
	v_cndmask_b32_e64 v108, 0, v108, s41
	;; [unrolled: 1-line block ×3, first 2 shown]
	ds_store_2addr_b64 v115, v[97:98], v[99:100] offset1:65
	v_perm_b32 v97, v176, v175, 0x5040100
	v_lshrrev_b32_e32 v101, 16, v101
	v_cndmask_b32_e64 v102, 0, v102, s43
	v_cndmask_b32_e64 v169, 0, v103, s44
	v_lshrrev_b32_e32 v103, 16, v103
	v_cndmask_b32_e64 v172, 0, v111, s52
	v_lshrrev_b32_e32 v111, 16, v111
	v_cndmask_b32_e64 v110, 0, v110, s51
	v_cndmask_b32_e64 v174, 0, v109, s50
	v_lshrrev_b32_e32 v109, 16, v109
	v_cndmask_b32_e64 v101, 0, v101, s42
	v_cndmask_b32_e64 v103, 0, v103, s44
	;; [unrolled: 1-line block ×3, first 2 shown]
	s_wait_loadcnt 0x3
	v_cndmask_b32_e64 v163, 0, v81, s17
	s_wait_loadcnt 0x1
	v_cndmask_b32_e64 v175, 0, v68, s8
	v_lshrrev_b32_e32 v68, 16, v68
	v_lshrrev_b32_e32 v81, 16, v81
	;; [unrolled: 1-line block ×3, first 2 shown]
	v_cndmask_b32_e64 v171, 0, v112, s53
	v_lshrrev_b32_e32 v112, 16, v112
	v_cndmask_b32_e64 v176, 0, v68, s8
	v_cndmask_b32_e64 v68, 0, v65, s5
	v_lshrrev_b32_e32 v65, 16, v65
	v_cndmask_b32_e64 v111, 0, v111, s52
	v_cndmask_b32_e64 v109, 0, v109, s50
	v_perm_b32 v105, v178, v177, 0x5040100
	v_perm_b32 v106, v106, v164, 0x5040100
	;; [unrolled: 1-line block ×5, first 2 shown]
	v_cndmask_b32_e64 v81, 0, v81, s17
	v_cndmask_b32_e64 v65, 0, v65, s5
	;; [unrolled: 1-line block ×4, first 2 shown]
	ds_store_2addr_b32 v115, v106, v105 offset0:65 offset1:66
	ds_store_2addr_b32 v115, v98, v97 offset0:195 offset1:196
	v_perm_b32 v98, v109, v174, 0x5040100
	v_perm_b32 v97, v101, v167, 0x5040100
	;; [unrolled: 1-line block ×4, first 2 shown]
	ds_store_2addr_b32 v117, v100, v99 offset1:1
	v_perm_b32 v100, v111, v172, 0x5040100
	v_perm_b32 v99, v103, v169, 0x5040100
	v_cndmask_b32_e64 v177, 0, v67, s7
	v_lshrrev_b32_e32 v67, 16, v67
	v_cndmask_b32_e64 v111, 0, v78, s20
	v_lshrrev_b32_e32 v78, 16, v78
	ds_store_2addr_b64 v115, v[97:98], v[99:100] offset0:130 offset1:195
	v_perm_b32 v97, v112, v171, 0x5040100
	v_perm_b32 v98, v104, v170, 0x5040100
	v_cndmask_b32_e64 v112, 0, v77, s18
	v_lshrrev_b32_e32 v77, 16, v77
	v_cndmask_b32_e64 v164, 0, v82, s23
	v_lshrrev_b32_e32 v82, 16, v82
	ds_store_2addr_b32 v118, v98, v97 offset1:1
	v_cndmask_b32_e64 v97, 0, v93, s38
	v_lshrrev_b32_e32 v93, 16, v93
	v_cndmask_b32_e64 v98, 0, v94, s37
	v_lshrrev_b32_e32 v94, 16, v94
	v_cndmask_b32_e64 v178, 0, v67, s7
	v_cndmask_b32_e64 v67, 0, v66, s6
	v_lshrrev_b32_e32 v66, 16, v66
	v_cndmask_b32_e64 v93, 0, v93, s38
	v_cndmask_b32_e64 v94, 0, v94, s37
	;; [unrolled: 1-line block ×3, first 2 shown]
	v_lshrrev_b32_e32 v95, 16, v95
	v_cndmask_b32_e64 v110, 0, v79, s22
	v_lshrrev_b32_e32 v79, 16, v79
	v_cndmask_b32_e64 v78, 0, v78, s20
	v_cndmask_b32_e64 v77, 0, v77, s18
	;; [unrolled: 1-line block ×7, first 2 shown]
	v_lshrrev_b32_e32 v83, 16, v83
	v_perm_b32 v77, v77, v112, 0x5040100
	v_perm_b32 v93, v93, v97, 0x5040100
	ds_store_2addr_b32 v145, v68, v65 offset1:1
	v_perm_b32 v68, v66, v67, 0x5040100
	v_perm_b32 v67, v82, v164, 0x5040100
	;; [unrolled: 1-line block ×4, first 2 shown]
	v_cndmask_b32_e64 v100, 0, v96, s34
	v_lshrrev_b32_e32 v96, 16, v96
	v_cndmask_b32_e64 v109, 0, v80, s24
	v_lshrrev_b32_e32 v80, 16, v80
	v_cndmask_b32_e64 v83, 0, v83, s21
	v_cndmask_b32_e64 v166, 0, v84, s19
	v_lshrrev_b32_e32 v84, 16, v84
	ds_store_2addr_b32 v144, v93, v77 offset1:1
	ds_store_b128 v116, v[65:68] offset:8832
	v_perm_b32 v65, v79, v110, 0x5040100
	v_perm_b32 v66, v95, v99, 0x5040100
	v_cndmask_b32_e64 v96, 0, v96, s34
	v_cndmask_b32_e64 v101, 0, v89, s33
	v_lshrrev_b32_e32 v89, 16, v89
	v_cndmask_b32_e64 v108, 0, v85, s25
	v_lshrrev_b32_e32 v85, 16, v85
	v_cndmask_b32_e64 v80, 0, v80, s24
	v_cndmask_b32_e64 v84, 0, v84, s19
	ds_store_2addr_b32 v146, v66, v65 offset1:1
	v_perm_b32 v65, v178, v177, 0x5040100
	v_perm_b32 v66, v83, v165, 0x5040100
	v_cndmask_b32_e64 v89, 0, v89, s33
	v_cndmask_b32_e64 v85, 0, v85, s25
	;; [unrolled: 1-line block ×3, first 2 shown]
	v_lshrrev_b32_e32 v73, 16, v73
	s_wait_loadcnt 0x0
	v_cndmask_b32_e64 v174, 0, v69, s9
	v_lshrrev_b32_e32 v69, 16, v69
	ds_store_2addr_b32 v147, v66, v65 offset1:1
	v_perm_b32 v66, v176, v175, 0x5040100
	v_perm_b32 v65, v84, v166, 0x5040100
	;; [unrolled: 1-line block ×4, first 2 shown]
	v_cndmask_b32_e64 v102, 0, v90, s31
	v_lshrrev_b32_e32 v90, 16, v90
	v_cndmask_b32_e64 v107, 0, v86, s26
	v_lshrrev_b32_e32 v86, 16, v86
	v_cndmask_b32_e64 v73, 0, v73, s16
	v_cndmask_b32_e64 v168, 0, v74, s15
	v_lshrrev_b32_e32 v74, 16, v74
	v_cndmask_b32_e64 v173, 0, v70, s10
	v_lshrrev_b32_e32 v70, 16, v70
	v_cndmask_b32_e64 v69, 0, v69, s9
	ds_store_2addr_b64 v148, v[67:68], v[65:66] offset1:1
	v_perm_b32 v65, v85, v108, 0x5040100
	v_perm_b32 v66, v89, v101, 0x5040100
	v_cndmask_b32_e64 v90, 0, v90, s31
	v_cndmask_b32_e64 v103, 0, v91, s30
	v_lshrrev_b32_e32 v91, 16, v91
	v_cndmask_b32_e64 v106, 0, v87, s27
	v_lshrrev_b32_e32 v87, 16, v87
	v_cndmask_b32_e64 v86, 0, v86, s26
	v_cndmask_b32_e64 v74, 0, v74, s15
	;; [unrolled: 1-line block ×3, first 2 shown]
	ds_store_2addr_b32 v149, v66, v65 offset1:1
	v_perm_b32 v65, v69, v174, 0x5040100
	v_perm_b32 v66, v73, v167, 0x5040100
	v_cndmask_b32_e64 v91, 0, v91, s30
	v_cndmask_b32_e64 v87, 0, v87, s27
	;; [unrolled: 1-line block ×3, first 2 shown]
	v_lshrrev_b32_e32 v75, 16, v75
	v_cndmask_b32_e64 v172, 0, v71, s11
	v_lshrrev_b32_e32 v71, 16, v71
	ds_store_2addr_b32 v153, v66, v65 offset1:1
	v_perm_b32 v68, v70, v173, 0x5040100
	v_perm_b32 v67, v74, v168, 0x5040100
	;; [unrolled: 1-line block ×4, first 2 shown]
	v_cndmask_b32_e64 v104, 0, v92, s28
	v_lshrrev_b32_e32 v92, 16, v92
	v_cndmask_b32_e64 v105, 0, v88, s29
	v_lshrrev_b32_e32 v88, 16, v88
	v_cndmask_b32_e64 v75, 0, v75, s14
	v_cndmask_b32_e64 v170, 0, v76, s13
	v_lshrrev_b32_e32 v76, 16, v76
	v_cndmask_b32_e64 v171, 0, v72, s12
	v_lshrrev_b32_e32 v72, 16, v72
	v_cndmask_b32_e64 v71, 0, v71, s11
	ds_store_b128 v116, v[65:68] offset:10896
	v_perm_b32 v65, v87, v106, 0x5040100
	v_perm_b32 v66, v91, v103, 0x5040100
	v_cndmask_b32_e64 v92, 0, v92, s28
	v_cndmask_b32_e64 v88, 0, v88, s29
	;; [unrolled: 1-line block ×4, first 2 shown]
	ds_store_2addr_b32 v154, v66, v65 offset1:1
	v_perm_b32 v65, v71, v172, 0x5040100
	v_perm_b32 v66, v75, v169, 0x5040100
	;; [unrolled: 1-line block ×4, first 2 shown]
	ds_store_2addr_b32 v155, v66, v65 offset1:1
	v_perm_b32 v66, v72, v171, 0x5040100
	v_perm_b32 v65, v76, v170, 0x5040100
	ds_store_2addr_b64 v156, v[67:68], v[65:66] offset1:1
	s_cbranch_scc1 .LBB1_1
; %bb.2:
	v_add_nc_u32_e32 v165, 0x2000, v129
	v_add_nc_u32_e32 v73, 0x2400, v129
	;; [unrolled: 1-line block ×4, first 2 shown]
	s_wait_dscnt 0x0
	s_barrier_signal -1
	s_barrier_wait -1
	ds_load_2addr_b32 v[69:70], v165 offset0:31 offset1:63
	ds_load_2addr_b32 v[77:78], v73 offset0:33 offset1:65
	;; [unrolled: 1-line block ×4, first 2 shown]
	v_add_nc_u32_e32 v65, 0x400, v128
	v_add_nc_u32_e32 v169, 0x3000, v129
	;; [unrolled: 1-line block ×4, first 2 shown]
	ds_load_2addr_b32 v[120:121], v128 offset1:32
	v_add_nc_u32_e32 v90, 0x3c00, v129
	ds_load_2addr_b32 v[122:123], v65 offset0:4 offset1:36
	ds_load_2addr_b32 v[81:82], v169 offset0:39 offset1:71
	;; [unrolled: 1-line block ×7, first 2 shown]
	v_add_nc_u32_e32 v75, 0xc00, v128
	v_add_nc_u32_e32 v91, 0x1400, v128
	;; [unrolled: 1-line block ×4, first 2 shown]
	s_and_b32 s57, s57, 0xffff
	s_lshl_b32 s5, s69, 5
	s_wait_dscnt 0xb
	v_dual_mov_b32 v65, v69 :: v_dual_add_nc_u32 v130, 0x5c00, v129
	s_wait_dscnt 0x9
	v_dual_mov_b32 v66, v77 :: v_dual_mov_b32 v67, v71
	s_wait_dscnt 0x8
	v_mov_b32_e32 v68, v79
	ds_load_2addr_b32 v[112:113], v73 offset0:97 offset1:129
	v_add_nc_u32_e32 v73, 0x800, v128
	ds_load_2addr_b32 v[114:115], v74 offset0:101 offset1:133
	ds_load_2addr_b32 v[124:125], v73 offset0:8 offset1:40
	;; [unrolled: 1-line block ×6, first 2 shown]
	v_add_nc_u32_e32 v77, 0x4000, v129
	v_add_nc_u32_e32 v79, 0x4400, v129
	s_wait_dscnt 0xb
	v_dual_mov_b32 v74, v85 :: v_dual_add_nc_u32 v89, 0x1000, v128
	s_wait_dscnt 0x9
	v_dual_mov_b32 v76, v87 :: v_dual_add_nc_u32 v85, 0x4800, v129
	v_add_nc_u32_e32 v87, 0x4c00, v129
	v_add_nc_u32_e32 v175, 0x5800, v129
	v_mov_b32_e32 v71, v123
	v_mov_b32_e32 v69, v121
	ds_load_2addr_b32 v[97:98], v77 offset0:47 offset1:79
	ds_load_2addr_b32 v[101:102], v79 offset0:49 offset1:81
	;; [unrolled: 1-line block ×14, first 2 shown]
	v_add_nc_u32_e32 v79, 0x1800, v128
	ds_load_2addr_b32 v[134:135], v87 offset0:117 offset1:149
	v_add_nc_u32_e32 v87, 0x1c00, v128
	v_mov_b32_e32 v73, v81
	v_mov_b32_e32 v75, v83
	s_wait_dscnt 0x12
	v_mov_b32_e32 v83, v127
	s_wait_dscnt 0xd
	v_dual_mov_b32 v93, v97 :: v_dual_mov_b32 v94, v101
	s_wait_dscnt 0xb
	v_dual_mov_b32 v95, v99 :: v_dual_mov_b32 v96, v103
	;; [unrolled: 2-line block ×4, first 2 shown]
	ds_load_2addr_b32 v[157:158], v79 offset0:24 offset1:56
	ds_load_2addr_b32 v[146:147], v79 offset0:154 offset1:186
	;; [unrolled: 1-line block ×4, first 2 shown]
	v_lshrrev_b32_e32 v79, 2, v0
	v_and_b32_e32 v87, 8, v151
	ds_load_2addr_b32 v[128:129], v111 offset0:121 offset1:153
	ds_load_2addr_b32 v[130:131], v130 offset0:125 offset1:157
	v_mov_b32_e32 v121, v109
	v_mov_b32_e32 v99, v156
	v_and_or_b32 v79, v79, 16, v87
	v_and_or_b32 v87, v151, 16, v152
	ds_load_2addr_b32 v[151:152], v166 offset0:99 offset1:131
	v_mov_b32_e32 v154, v142
	v_dual_mov_b32 v156, v144 :: v_dual_mov_b32 v89, v161
	v_dual_mov_b32 v92, v107 :: v_dual_lshlrev_b32 v79, 7, v79
	v_mov_b32_e32 v101, v98
	v_mov_b32_e32 v103, v100
	s_wait_dscnt 0x5
	v_dual_mov_b32 v109, v158 :: v_dual_mov_b32 v158, v146
	ds_load_2addr_b32 v[165:166], v165 offset0:95 offset1:127
	ds_load_2addr_b32 v[167:168], v167 offset0:107 offset1:139
	;; [unrolled: 1-line block ×7, first 2 shown]
	v_mov_b32_e32 v123, v136
	v_mov_b32_e32 v127, v140
	v_bfe_u32 v140, v0, 2, 5
	v_mov_b32_e32 v81, v125
	v_mov_b32_e32 v125, v138
	v_wmma_f32_16x16x16_bf16 v[41:48], v[120:123], v[65:68], v[41:48]
	v_mov_b32_e32 v91, v163
	s_wait_dscnt 0xa
	v_dual_mov_b32 v111, v160 :: v_dual_mov_b32 v160, v148
	v_lshl_or_b32 v136, v87, 2, v79
	s_wait_dscnt 0x0
	s_barrier_signal -1
	s_barrier_wait -1
	v_mov_b32_e32 v77, v70
	v_mov_b32_e32 v79, v72
	;; [unrolled: 1-line block ×3, first 2 shown]
	v_dual_mov_b32 v87, v84 :: v_dual_mov_b32 v132, v174
	v_wmma_f32_16x16x16_bf16 v[41:48], v[124:127], v[73:76], v[41:48]
	v_lshl_or_b32 v138, s58, 7, v150
	v_wmma_f32_16x16x16_bf16 v[25:32], v[120:123], v[77:80], v[25:32]
	v_mov_b32_e32 v107, v164
	s_lshl_b32 s58, s54, 1
	v_wmma_f32_16x16x16_bf16 v[41:48], v[153:156], v[93:96], v[41:48]
	v_mov_b32_e32 v161, v173
	v_wmma_f32_16x16x16_bf16 v[25:32], v[124:127], v[85:88], v[25:32]
	v_dual_mov_b32 v163, v171 :: v_dual_mov_b32 v164, v134
	s_delay_alu instid0(VALU_DEP_4)
	v_wmma_f32_16x16x16_bf16 v[41:48], v[157:160], v[89:92], v[41:48]
	ds_store_2addr_b32 v136, v41, v42 offset1:32
	ds_store_2addr_b32 v136, v43, v44 offset0:64 offset1:96
	ds_store_2addr_b32 v136, v45, v46 offset0:128 offset1:160
	;; [unrolled: 1-line block ×3, first 2 shown]
	v_lshrrev_b32_e32 v45, 7, v0
	v_lshlrev_b32_e32 v0, 7, v140
	v_lshlrev_b32_e32 v42, 2, v150
	s_wait_dscnt 0x0
	s_barrier_signal -1
	v_lshlrev_b32_e32 v41, 12, v45
	s_barrier_wait -1
	v_add_nc_u32_e32 v70, s59, v45
	v_wmma_f32_16x16x16_bf16 v[25:32], v[153:156], v[101:104], v[25:32]
	s_mov_b32 s59, 0x31004000
	v_or3_b32 v0, v0, v41, v42
	v_mov_b32_e32 v134, v172
	v_lshl_or_b32 v140, v70, 6, v140
	v_wmma_f32_16x16x16_bf16 v[25:32], v[157:160], v[105:108], v[25:32]
	ds_load_b128 v[41:44], v0
	ds_load_b128 v[45:48], v0 offset:16
	v_cmp_gt_i32_e64 s1, s68, v140
	s_wait_dscnt 0x1
	v_bfe_u32 v72, v41, 16, 1
	v_bfe_u32 v82, v42, 16, 1
	v_cmp_u_f32_e32 vcc_lo, v41, v41
	v_or_b32_e32 v84, 0x400000, v42
	v_bfe_u32 v98, v43, 16, 1
	v_add3_u32 v70, v72, v41, 0x7fff
	v_or_b32_e32 v72, 0x400000, v41
	v_add3_u32 v82, v82, v42, 0x7fff
	v_bfe_u32 v41, v44, 16, 1
	s_wait_dscnt 0x0
	v_cmp_u_f32_e64 s0, v46, v46
	v_cndmask_b32_e32 v70, v70, v72, vcc_lo
	v_cmp_u_f32_e32 vcc_lo, v42, v42
	v_add3_u32 v42, v98, v43, 0x7fff
	v_add3_u32 v41, v41, v44, 0x7fff
	v_bfe_u32 v98, v45, 16, 1
	s_wait_alu 0xfffd
	v_cndmask_b32_e32 v72, v82, v84, vcc_lo
	v_or_b32_e32 v82, 0x400000, v43
	v_cmp_u_f32_e32 vcc_lo, v43, v43
	v_or_b32_e32 v84, 0x400000, v44
	s_wait_alu 0xfffd
	s_delay_alu instid0(VALU_DEP_3)
	v_cndmask_b32_e32 v43, v42, v82, vcc_lo
	v_cmp_u_f32_e32 vcc_lo, v44, v44
	v_bfe_u32 v42, v47, 16, 1
	v_or_b32_e32 v44, 0x400000, v45
	s_wait_alu 0xfffd
	v_cndmask_b32_e32 v82, v41, v84, vcc_lo
	v_add3_u32 v41, v98, v45, 0x7fff
	v_cmp_u_f32_e32 vcc_lo, v45, v45
	v_add3_u32 v42, v42, v47, 0x7fff
	v_or_b32_e32 v84, 0x400000, v47
	v_bfe_u32 v98, v48, 16, 1
	v_bfe_u32 v45, v46, 16, 1
	s_wait_alu 0xfffd
	v_cndmask_b32_e32 v44, v41, v44, vcc_lo
	v_cmp_u_f32_e32 vcc_lo, v47, v47
	v_perm_b32 v43, v82, v43, 0x7060302
	s_wait_alu 0xfffd
	v_cndmask_b32_e32 v47, v42, v84, vcc_lo
	v_add3_u32 v84, v98, v48, 0x7fff
	v_or_b32_e32 v98, 0x400000, v48
	v_cmp_u_f32_e32 vcc_lo, v48, v48
	v_mad_co_u64_u32 v[41:42], null, v140, s69, v[138:139]
	v_add3_u32 v42, v45, v46, 0x7fff
	v_or_b32_e32 v48, 0x400000, v46
	s_wait_alu 0xfffd
	v_cndmask_b32_e32 v45, v84, v98, vcc_lo
	v_cmp_gt_i32_e32 vcc_lo, s70, v138
	s_delay_alu instid0(VALU_DEP_3)
	v_cndmask_b32_e64 v42, v42, v48, s0
	v_lshlrev_b32_e32 v46, 1, v41
	s_and_b32 s0, vcc_lo, s1
	v_perm_b32 v45, v45, v47, 0x7060302
	s_wait_alu 0xfffe
	v_cndmask_b32_e64 v48, 0x80000000, 0, s0
	v_perm_b32 v44, v42, v44, 0x7060302
	v_perm_b32 v42, v72, v70, 0x7060302
	s_delay_alu instid0(VALU_DEP_3)
	v_add_nc_u32_e32 v47, v48, v46
	buffer_store_b128 v[42:45], v47, s[56:59], null offen
	s_wait_dscnt 0x0
	s_barrier_signal -1
	s_barrier_wait -1
	ds_store_2addr_b32 v136, v25, v26 offset1:32
	ds_store_2addr_b32 v136, v27, v28 offset0:64 offset1:96
	ds_store_2addr_b32 v136, v29, v30 offset0:128 offset1:160
	ds_store_2addr_b32 v136, v31, v32 offset0:192 offset1:224
	s_wait_dscnt 0x0
	s_barrier_signal -1
	s_barrier_wait -1
	ds_load_b128 v[25:28], v0
	ds_load_b128 v[29:32], v0 offset:16
	v_dual_mov_b32 v43, v112 :: v_dual_mov_b32 v42, v165
	v_dual_mov_b32 v44, v151 :: v_dual_mov_b32 v45, v114
	v_mov_b32_e32 v114, v152
	s_wait_dscnt 0x1
	v_bfe_u32 v47, v25, 16, 1
	v_bfe_u32 v48, v26, 16, 1
	v_or_b32_e32 v70, 0x400000, v25
	v_cmp_u_f32_e64 s0, v25, v25
	v_or_b32_e32 v72, 0x400000, v26
	v_add3_u32 v47, v47, v25, 0x7fff
	v_add3_u32 v48, v48, v26, 0x7fff
	v_bfe_u32 v82, v27, 16, 1
	v_bfe_u32 v25, v28, 16, 1
	v_cmp_u_f32_e64 s2, v27, v27
	s_wait_alu 0xf1ff
	v_cndmask_b32_e64 v47, v47, v70, s0
	v_cmp_u_f32_e64 s0, v26, v26
	s_wait_dscnt 0x0
	v_bfe_u32 v26, v29, 16, 1
	v_add3_u32 v70, v82, v27, 0x7fff
	v_add3_u32 v82, v25, v28, 0x7fff
	v_bfe_u32 v25, v31, 16, 1
	s_wait_alu 0xf1ff
	v_cndmask_b32_e64 v48, v48, v72, s0
	v_or_b32_e32 v72, 0x400000, v27
	v_add3_u32 v26, v26, v29, 0x7fff
	v_or_b32_e32 v27, 0x400000, v29
	v_cmp_u_f32_e64 s0, v29, v29
	v_or_b32_e32 v84, 0x400000, v28
	v_cmp_u_f32_e64 s3, v28, v28
	v_bfe_u32 v28, v30, 16, 1
	v_add3_u32 v25, v25, v31, 0x7fff
	v_or_b32_e32 v98, 0x400000, v31
	v_bfe_u32 v100, v32, 16, 1
	s_wait_alu 0xf1ff
	v_cndmask_b32_e64 v29, v26, v27, s0
	v_cmp_u_f32_e64 s0, v31, v31
	v_add3_u32 v112, v28, v30, 0x7fff
	v_or_b32_e32 v27, 0x400000, v32
	v_add3_u32 v26, v100, v32, 0x7fff
	v_cmp_u_f32_e64 s4, v32, v32
	s_wait_alu 0xf1ff
	v_cndmask_b32_e64 v31, v25, v98, s0
	v_or_b32_e32 v98, 0x400000, v30
	v_cmp_u_f32_e64 s0, v30, v30
	v_or_b32_e32 v32, 32, v138
	v_cndmask_b32_e64 v70, v70, v72, s2
	v_cndmask_b32_e64 v30, v26, v27, s4
	;; [unrolled: 1-line block ×3, first 2 shown]
	s_wait_alu 0xf1ff
	v_cndmask_b32_e64 v98, v112, v98, s0
	v_cmp_gt_i32_e64 s0, s70, v32
	v_mov_b32_e32 v25, v169
	v_perm_b32 v32, v30, v31, 0x7060302
	v_perm_b32 v30, v72, v70, 0x7060302
	;; [unrolled: 1-line block ×3, first 2 shown]
	s_and_b32 s2, s1, s0
	v_perm_b32 v29, v48, v47, 0x7060302
	s_wait_alu 0xfffe
	v_cndmask_b32_e64 v82, 0x80000000, 0, s2
	v_dual_mov_b32 v26, v116 :: v_dual_mov_b32 v27, v167
	v_mov_b32_e32 v28, v118
	v_mov_b32_e32 v112, v166
	s_delay_alu instid0(VALU_DEP_4)
	v_dual_mov_b32 v118, v168 :: v_dual_add_nc_u32 v47, v46, v82
	v_or_b32_e32 v72, 64, v138
	v_mov_b32_e32 v116, v170
	buffer_store_b128 v[29:32], v47, s[56:59], null offen offset:64
	v_mov_b32_e32 v32, v130
	v_wmma_f32_16x16x16_bf16 v[17:24], v[120:123], v[42:45], v[17:24]
	v_dual_mov_b32 v29, v177 :: v_dual_mov_b32 v30, v128
	v_mov_b32_e32 v31, v175
	s_wait_dscnt 0x0
	s_delay_alu instid0(VALU_DEP_3)
	v_wmma_f32_16x16x16_bf16 v[17:24], v[124:127], v[25:28], v[17:24]
	s_barrier_signal -1
	s_barrier_wait -1
	v_wmma_f32_16x16x16_bf16 v[9:16], v[120:123], v[112:115], v[9:16]
	v_mov_b32_e32 v128, v178
	v_wmma_f32_16x16x16_bf16 v[17:24], v[153:156], v[161:164], v[17:24]
	v_mov_b32_e32 v130, v176
	s_delay_alu instid0(VALU_DEP_4) | instskip(NEXT) | instid1(VALU_DEP_3)
	v_wmma_f32_16x16x16_bf16 v[9:16], v[124:127], v[116:119], v[9:16]
	v_wmma_f32_16x16x16_bf16 v[17:24], v[157:160], v[29:32], v[17:24]
	ds_store_2addr_b32 v136, v17, v18 offset1:32
	ds_store_2addr_b32 v136, v19, v20 offset0:64 offset1:96
	ds_store_2addr_b32 v136, v21, v22 offset0:128 offset1:160
	;; [unrolled: 1-line block ×3, first 2 shown]
	s_wait_dscnt 0x0
	s_barrier_signal -1
	s_barrier_wait -1
	ds_load_b128 v[17:20], v0
	ds_load_b128 v[21:24], v0 offset:16
	v_wmma_f32_16x16x16_bf16 v[9:16], v[153:156], v[132:135], v[9:16]
	s_delay_alu instid0(VALU_DEP_1)
	v_wmma_f32_16x16x16_bf16 v[9:16], v[157:160], v[128:131], v[9:16]
	s_wait_dscnt 0x1
	v_bfe_u32 v47, v17, 16, 1
	v_or_b32_e32 v48, 0x400000, v17
	v_bfe_u32 v70, v18, 16, 1
	v_cmp_u_f32_e64 s2, v17, v17
	v_bfe_u32 v82, v19, 16, 1
	v_add3_u32 v47, v47, v17, 0x7fff
	s_wait_dscnt 0x0
	v_bfe_u32 v98, v21, 16, 1
	v_bfe_u32 v84, v20, 16, 1
	v_or_b32_e32 v100, 0x400000, v23
	v_cmp_u_f32_e64 s3, v24, v24
	s_wait_alu 0xf1ff
	v_cndmask_b32_e64 v17, v47, v48, s2
	v_add3_u32 v47, v70, v18, 0x7fff
	v_or_b32_e32 v48, 0x400000, v18
	v_cmp_u_f32_e64 s2, v18, v18
	v_add3_u32 v70, v82, v19, 0x7fff
	v_or_b32_e32 v82, 0x400000, v19
	s_wait_alu 0xf1ff
	s_delay_alu instid0(VALU_DEP_3)
	v_cndmask_b32_e64 v47, v47, v48, s2
	v_cmp_u_f32_e64 s2, v19, v19
	v_add3_u32 v48, v98, v21, 0x7fff
	v_bfe_u32 v98, v23, 16, 1
	v_add3_u32 v19, v84, v20, 0x7fff
	v_or_b32_e32 v84, 0x400000, v20
	s_wait_alu 0xf1ff
	v_cndmask_b32_e64 v18, v70, v82, s2
	v_or_b32_e32 v70, 0x400000, v21
	v_bfe_u32 v82, v22, 16, 1
	v_cmp_u_f32_e64 s2, v21, v21
	v_add3_u32 v98, v98, v23, 0x7fff
	v_perm_b32 v17, v47, v17, 0x7060302
	s_wait_alu 0xf1ff
	s_delay_alu instid0(VALU_DEP_3)
	v_cndmask_b32_e64 v21, v48, v70, s2
	v_add3_u32 v48, v82, v22, 0x7fff
	v_or_b32_e32 v70, 0x400000, v22
	v_bfe_u32 v82, v24, 16, 1
	v_cmp_u_f32_e64 s2, v22, v22
	s_wait_alu 0xf1ff
	s_delay_alu instid0(VALU_DEP_1) | instskip(NEXT) | instid1(VALU_DEP_3)
	v_cndmask_b32_e64 v22, v48, v70, s2
	v_add3_u32 v48, v82, v24, 0x7fff
	v_or_b32_e32 v70, 0x400000, v24
	v_cmp_u_f32_e64 s2, v23, v23
	v_mov_b32_e32 v82, v139
	s_delay_alu instid0(VALU_DEP_3) | instskip(SKIP_1) | instid1(VALU_DEP_3)
	v_cndmask_b32_e64 v24, v48, v70, s3
	s_wait_alu 0xf1ff
	v_cndmask_b32_e64 v23, v98, v100, s2
	v_cmp_gt_i32_e64 s2, s70, v72
	v_cmp_u_f32_e64 s3, v20, v20
	v_mov_b32_e32 v72, v137
	v_mov_b32_e32 v98, v143
	v_perm_b32 v20, v24, v23, 0x7060302
	v_mov_b32_e32 v100, v145
	s_wait_alu 0xf1ff
	v_cndmask_b32_e64 v48, v19, v84, s3
	s_and_b32 s3, s1, s2
	v_perm_b32 v19, v22, v21, 0x7060302
	s_wait_alu 0xfffe
	v_cndmask_b32_e64 v70, 0x80000000, 0, s3
	v_mov_b32_e32 v84, v141
	v_perm_b32 v18, v48, v18, 0x7060302
	s_delay_alu instid0(VALU_DEP_3)
	v_add_nc_u32_e32 v21, v46, v70
	v_mov_b32_e32 v70, v110
	v_mov_b32_e32 v110, v147
	buffer_store_b128 v[17:20], v21, s[56:59], null offen offset:128
	s_wait_dscnt 0x0
	s_barrier_signal -1
	s_barrier_wait -1
	ds_store_2addr_b32 v136, v9, v10 offset1:32
	ds_store_2addr_b32 v136, v11, v12 offset0:64 offset1:96
	ds_store_2addr_b32 v136, v13, v14 offset0:128 offset1:160
	ds_store_2addr_b32 v136, v15, v16 offset0:192 offset1:224
	s_wait_dscnt 0x0
	s_barrier_signal -1
	s_barrier_wait -1
	ds_load_b128 v[9:12], v0
	ds_load_b128 v[13:16], v0 offset:16
	v_or_b32_e32 v18, 0x60, v138
	v_wmma_f32_16x16x16_bf16 v[57:64], v[69:72], v[112:115], v[57:64]
	v_dual_mov_b32 v112, v149 :: v_dual_add_nc_u32 v21, 0x60, v41
	v_wmma_f32_16x16x16_bf16 v[49:56], v[69:72], v[42:45], v[49:56]
	v_wmma_f32_16x16x16_bf16 v[33:40], v[69:72], v[77:80], v[33:40]
	s_delay_alu instid0(VALU_DEP_4) | instskip(SKIP_1) | instid1(VALU_DEP_4)
	v_wmma_f32_16x16x16_bf16 v[57:64], v[81:84], v[116:119], v[57:64]
	v_wmma_f32_16x16x16_bf16 v[1:8], v[69:72], v[65:68], v[1:8]
	;; [unrolled: 1-line block ×3, first 2 shown]
	s_delay_alu instid0(VALU_DEP_4) | instskip(NEXT) | instid1(VALU_DEP_4)
	v_wmma_f32_16x16x16_bf16 v[33:40], v[81:84], v[85:88], v[33:40]
	v_wmma_f32_16x16x16_bf16 v[57:64], v[97:100], v[132:135], v[57:64]
	s_delay_alu instid0(VALU_DEP_4) | instskip(NEXT) | instid1(VALU_DEP_4)
	v_wmma_f32_16x16x16_bf16 v[1:8], v[81:84], v[73:76], v[1:8]
	v_wmma_f32_16x16x16_bf16 v[49:56], v[97:100], v[161:164], v[49:56]
	s_delay_alu instid0(VALU_DEP_4) | instskip(NEXT) | instid1(VALU_DEP_4)
	v_wmma_f32_16x16x16_bf16 v[33:40], v[97:100], v[101:104], v[33:40]
	v_wmma_f32_16x16x16_bf16 v[57:64], v[109:112], v[128:131], v[57:64]
	s_delay_alu instid0(VALU_DEP_4)
	v_wmma_f32_16x16x16_bf16 v[1:8], v[97:100], v[93:96], v[1:8]
	s_wait_dscnt 0x1
	v_bfe_u32 v17, v9, 16, 1
	v_or_b32_e32 v19, 0x400000, v9
	v_bfe_u32 v20, v10, 16, 1
	v_cmp_u_f32_e64 s3, v9, v9
	v_bfe_u32 v22, v11, 16, 1
	v_add3_u32 v17, v17, v9, 0x7fff
	s_wait_dscnt 0x0
	v_bfe_u32 v24, v13, 16, 1
	v_or_b32_e32 v46, 0x400000, v15
	v_bfe_u32 v23, v12, 16, 1
	v_cmp_u_f32_e64 s4, v16, v16
	s_wait_alu 0xf1ff
	v_cndmask_b32_e64 v9, v17, v19, s3
	v_add3_u32 v17, v20, v10, 0x7fff
	v_or_b32_e32 v19, 0x400000, v10
	v_cmp_u_f32_e64 s3, v10, v10
	v_add3_u32 v20, v22, v11, 0x7fff
	v_or_b32_e32 v22, 0x400000, v11
	v_wmma_f32_16x16x16_bf16 v[49:56], v[109:112], v[29:32], v[49:56]
	v_wmma_f32_16x16x16_bf16 v[33:40], v[109:112], v[105:108], v[33:40]
	s_wait_alu 0xf1ff
	v_cndmask_b32_e64 v17, v17, v19, s3
	v_cmp_u_f32_e64 s3, v11, v11
	v_add3_u32 v19, v24, v13, 0x7fff
	v_bfe_u32 v24, v15, 16, 1
	v_add3_u32 v11, v23, v12, 0x7fff
	v_or_b32_e32 v23, 0x400000, v12
	s_wait_alu 0xf1ff
	v_cndmask_b32_e64 v10, v20, v22, s3
	v_or_b32_e32 v20, 0x400000, v13
	v_bfe_u32 v22, v14, 16, 1
	v_cmp_u_f32_e64 s3, v13, v13
	v_add3_u32 v24, v24, v15, 0x7fff
	v_perm_b32 v9, v17, v9, 0x7060302
	v_wmma_f32_16x16x16_bf16 v[1:8], v[109:112], v[89:92], v[1:8]
	s_wait_alu 0xf1ff
	v_cndmask_b32_e64 v13, v19, v20, s3
	v_add3_u32 v19, v22, v14, 0x7fff
	v_or_b32_e32 v20, 0x400000, v14
	v_cmp_u_f32_e64 s3, v14, v14
	v_bfe_u32 v22, v16, 16, 1
	s_wait_alu 0xf1ff
	s_delay_alu instid0(VALU_DEP_2) | instskip(SKIP_1) | instid1(VALU_DEP_3)
	v_cndmask_b32_e64 v14, v19, v20, s3
	v_cmp_u_f32_e64 s3, v15, v15
	v_add3_u32 v19, v22, v16, 0x7fff
	v_or_b32_e32 v20, 0x400000, v16
	s_wait_alu 0xf1ff
	s_delay_alu instid0(VALU_DEP_3) | instskip(SKIP_1) | instid1(VALU_DEP_3)
	v_cndmask_b32_e64 v15, v24, v46, s3
	v_cmp_gt_i32_e64 s3, s70, v18
	v_cndmask_b32_e64 v16, v19, v20, s4
	v_cmp_u_f32_e64 s4, v12, v12
	s_and_b32 s1, s1, s3
	v_perm_b32 v12, v16, v15, 0x7060302
	v_cndmask_b32_e64 v18, v11, v23, s4
	s_wait_alu 0xfffe
	v_cndmask_b32_e64 v19, 0x80000000, 0, s1
	v_perm_b32 v11, v14, v13, 0x7060302
	s_delay_alu instid0(VALU_DEP_3) | instskip(NEXT) | instid1(VALU_DEP_3)
	v_perm_b32 v10, v18, v10, 0x7060302
	v_lshl_add_u32 v13, v21, 1, v19
	v_or_b32_e32 v19, 32, v140
	buffer_store_b128 v[9:12], v13, s[56:59], null offen
	s_wait_dscnt 0x0
	s_barrier_signal -1
	s_barrier_wait -1
	ds_store_2addr_b32 v136, v57, v58 offset1:32
	ds_store_2addr_b32 v136, v59, v60 offset0:64 offset1:96
	ds_store_2addr_b32 v136, v61, v62 offset0:128 offset1:160
	;; [unrolled: 1-line block ×3, first 2 shown]
	s_wait_dscnt 0x0
	s_barrier_signal -1
	s_barrier_wait -1
	ds_load_b128 v[9:12], v0
	ds_load_b128 v[13:16], v0 offset:16
	s_wait_dscnt 0x1
	v_bfe_u32 v17, v9, 16, 1
	v_bfe_u32 v18, v10, 16, 1
	v_or_b32_e32 v20, 0x400000, v9
	v_cmp_u_f32_e64 s1, v9, v9
	v_or_b32_e32 v22, 0x400000, v10
	v_add3_u32 v17, v17, v9, 0x7fff
	v_add3_u32 v18, v18, v10, 0x7fff
	v_bfe_u32 v23, v11, 16, 1
	s_wait_dscnt 0x0
	v_or_b32_e32 v24, 0x400000, v16
	v_cmp_u_f32_e64 s4, v16, v16
	s_wait_alu 0xf1ff
	v_cndmask_b32_e64 v9, v17, v20, s1
	v_cmp_u_f32_e64 s1, v10, v10
	v_bfe_u32 v17, v12, 16, 1
	v_add3_u32 v10, v23, v11, 0x7fff
	v_or_b32_e32 v20, 0x400000, v11
	v_or_b32_e32 v23, 0x400000, v12
	s_wait_alu 0xf1ff
	v_cndmask_b32_e64 v18, v18, v22, s1
	v_cmp_u_f32_e64 s1, v11, v11
	v_bfe_u32 v22, v13, 16, 1
	v_add3_u32 v17, v17, v12, 0x7fff
	s_delay_alu instid0(VALU_DEP_4)
	v_perm_b32 v9, v18, v9, 0x7060302
	s_wait_alu 0xf1ff
	v_cndmask_b32_e64 v10, v10, v20, s1
	v_cmp_u_f32_e64 s1, v12, v12
	v_add3_u32 v11, v22, v13, 0x7fff
	v_or_b32_e32 v20, 0x400000, v13
	v_bfe_u32 v22, v15, 16, 1
	v_bfe_u32 v12, v14, 16, 1
	s_wait_alu 0xf1ff
	v_cndmask_b32_e64 v17, v17, v23, s1
	v_cmp_u_f32_e64 s1, v13, v13
	v_bfe_u32 v13, v16, 16, 1
	v_or_b32_e32 v23, 0x400000, v14
	v_add3_u32 v12, v12, v14, 0x7fff
	v_perm_b32 v10, v17, v10, 0x7060302
	s_wait_alu 0xf1ff
	v_cndmask_b32_e64 v11, v11, v20, s1
	v_add3_u32 v20, v22, v15, 0x7fff
	v_or_b32_e32 v22, 0x400000, v15
	v_cmp_u_f32_e64 s1, v15, v15
	v_add3_u32 v13, v13, v16, 0x7fff
	s_wait_alu 0xf1ff
	s_delay_alu instid0(VALU_DEP_2) | instskip(SKIP_1) | instid1(VALU_DEP_3)
	v_cndmask_b32_e64 v15, v20, v22, s1
	v_cmp_gt_i32_e64 s1, s68, v19
	v_cndmask_b32_e64 v13, v13, v24, s4
	v_cmp_u_f32_e64 s4, v14, v14
	v_add_lshl_u32 v19, v21, s5, 1
	s_and_b32 s3, s3, s1
	s_and_b32 s2, s2, s1
	v_cndmask_b32_e64 v14, v12, v23, s4
	s_wait_alu 0xfffe
	v_cndmask_b32_e64 v16, 0x80000000, 0, s3
	v_perm_b32 v12, v13, v15, 0x7060302
	s_and_b32 s0, s0, s1
	v_perm_b32 v11, v14, v11, 0x7060302
	s_delay_alu instid0(VALU_DEP_3)
	v_add_nc_u32_e32 v13, v19, v16
	buffer_store_b128 v[9:12], v13, s[56:59], null offen
	s_wait_dscnt 0x0
	s_barrier_signal -1
	s_barrier_wait -1
	ds_store_2addr_b32 v136, v49, v50 offset1:32
	ds_store_2addr_b32 v136, v51, v52 offset0:64 offset1:96
	ds_store_2addr_b32 v136, v53, v54 offset0:128 offset1:160
	;; [unrolled: 1-line block ×3, first 2 shown]
	s_wait_dscnt 0x0
	s_barrier_signal -1
	s_barrier_wait -1
	ds_load_b128 v[9:12], v0
	ds_load_b128 v[13:16], v0 offset:16
	s_wait_dscnt 0x1
	v_bfe_u32 v17, v9, 16, 1
	v_or_b32_e32 v18, 0x400000, v9
	v_bfe_u32 v20, v10, 16, 1
	v_cmp_u_f32_e64 s3, v9, v9
	v_bfe_u32 v21, v11, 16, 1
	v_add3_u32 v17, v17, v9, 0x7fff
	s_wait_dscnt 0x0
	v_bfe_u32 v23, v13, 16, 1
	v_or_b32_e32 v24, 0x400000, v15
	v_bfe_u32 v22, v12, 16, 1
	s_wait_alu 0xf1ff
	v_cndmask_b32_e64 v9, v17, v18, s3
	v_add3_u32 v17, v20, v10, 0x7fff
	v_or_b32_e32 v18, 0x400000, v10
	v_cmp_u_f32_e64 s3, v10, v10
	v_add3_u32 v20, v21, v11, 0x7fff
	v_or_b32_e32 v21, 0x400000, v11
	s_wait_alu 0xf1ff
	s_delay_alu instid0(VALU_DEP_3)
	v_cndmask_b32_e64 v17, v17, v18, s3
	v_cmp_u_f32_e64 s3, v11, v11
	v_add3_u32 v18, v23, v13, 0x7fff
	v_bfe_u32 v23, v15, 16, 1
	v_add3_u32 v11, v22, v12, 0x7fff
	v_or_b32_e32 v22, 0x400000, v12
	s_wait_alu 0xf1ff
	v_cndmask_b32_e64 v10, v20, v21, s3
	v_or_b32_e32 v20, 0x400000, v13
	v_bfe_u32 v21, v14, 16, 1
	v_cmp_u_f32_e64 s3, v13, v13
	v_add3_u32 v23, v23, v15, 0x7fff
	v_perm_b32 v9, v17, v9, 0x7060302
	s_wait_alu 0xf1ff
	s_delay_alu instid0(VALU_DEP_3)
	v_cndmask_b32_e64 v13, v18, v20, s3
	v_add3_u32 v18, v21, v14, 0x7fff
	v_or_b32_e32 v20, 0x400000, v14
	v_cmp_u_f32_e64 s3, v14, v14
	v_bfe_u32 v21, v16, 16, 1
	s_wait_alu 0xf1ff
	s_delay_alu instid0(VALU_DEP_2) | instskip(SKIP_1) | instid1(VALU_DEP_3)
	v_cndmask_b32_e64 v14, v18, v20, s3
	v_cmp_u_f32_e64 s3, v15, v15
	v_add3_u32 v18, v21, v16, 0x7fff
	v_or_b32_e32 v20, 0x400000, v16
	v_not_b32_e32 v21, 63
	s_wait_alu 0xf1ff
	v_cndmask_b32_e64 v15, v23, v24, s3
	v_cmp_u_f32_e64 s3, v16, v16
	s_wait_alu 0xf1ff
	s_delay_alu instid0(VALU_DEP_1) | instskip(SKIP_2) | instid1(VALU_DEP_3)
	v_cndmask_b32_e64 v16, v18, v20, s3
	v_cmp_u_f32_e64 s3, v12, v12
	v_cndmask_b32_e64 v20, 0x7fffffc0, v21, s2
	v_perm_b32 v12, v16, v15, 0x7060302
	s_wait_alu 0xf1ff
	s_delay_alu instid0(VALU_DEP_3) | instskip(SKIP_2) | instid1(VALU_DEP_3)
	v_cndmask_b32_e64 v18, v11, v22, s3
	v_perm_b32 v11, v14, v13, 0x7060302
	v_add_nc_u32_e32 v13, v20, v19
	v_perm_b32 v10, v18, v10, 0x7060302
	buffer_store_b128 v[9:12], v13, s[56:59], null offen
	s_wait_dscnt 0x0
	s_barrier_signal -1
	s_barrier_wait -1
	ds_store_2addr_b32 v136, v33, v34 offset1:32
	ds_store_2addr_b32 v136, v35, v36 offset0:64 offset1:96
	ds_store_2addr_b32 v136, v37, v38 offset0:128 offset1:160
	;; [unrolled: 1-line block ×3, first 2 shown]
	s_wait_dscnt 0x0
	s_barrier_signal -1
	s_barrier_wait -1
	ds_load_b128 v[9:12], v0
	ds_load_b128 v[13:16], v0 offset:16
	s_wait_dscnt 0x1
	v_bfe_u32 v17, v9, 16, 1
	v_or_b32_e32 v18, 0x400000, v9
	v_bfe_u32 v20, v10, 16, 1
	v_cmp_u_f32_e64 s2, v9, v9
	v_bfe_u32 v21, v11, 16, 1
	v_add3_u32 v17, v17, v9, 0x7fff
	s_wait_dscnt 0x0
	v_bfe_u32 v23, v13, 16, 1
	v_or_b32_e32 v24, 0x400000, v15
	v_bfe_u32 v22, v12, 16, 1
	s_wait_alu 0xf1ff
	v_cndmask_b32_e64 v9, v17, v18, s2
	v_add3_u32 v17, v20, v10, 0x7fff
	v_or_b32_e32 v18, 0x400000, v10
	v_cmp_u_f32_e64 s2, v10, v10
	v_add3_u32 v20, v21, v11, 0x7fff
	v_or_b32_e32 v21, 0x400000, v11
	s_wait_alu 0xf1ff
	s_delay_alu instid0(VALU_DEP_3)
	v_cndmask_b32_e64 v17, v17, v18, s2
	v_cmp_u_f32_e64 s2, v11, v11
	v_add3_u32 v18, v23, v13, 0x7fff
	v_bfe_u32 v23, v15, 16, 1
	v_add3_u32 v11, v22, v12, 0x7fff
	v_or_b32_e32 v22, 0x400000, v12
	s_wait_alu 0xf1ff
	v_cndmask_b32_e64 v10, v20, v21, s2
	v_or_b32_e32 v20, 0x400000, v13
	v_bfe_u32 v21, v14, 16, 1
	v_cmp_u_f32_e64 s2, v13, v13
	v_add3_u32 v23, v23, v15, 0x7fff
	v_perm_b32 v9, v17, v9, 0x7060302
	s_wait_alu 0xf1ff
	s_delay_alu instid0(VALU_DEP_3)
	v_cndmask_b32_e64 v13, v18, v20, s2
	v_add3_u32 v18, v21, v14, 0x7fff
	v_or_b32_e32 v20, 0x400000, v14
	v_cmp_u_f32_e64 s2, v14, v14
	v_bfe_u32 v21, v16, 16, 1
	s_wait_alu 0xf1ff
	s_delay_alu instid0(VALU_DEP_2) | instskip(SKIP_1) | instid1(VALU_DEP_3)
	v_cndmask_b32_e64 v14, v18, v20, s2
	v_cmp_u_f32_e64 s2, v15, v15
	v_add3_u32 v18, v21, v16, 0x7fff
	v_or_b32_e32 v20, 0x400000, v16
	v_mov_b32_e32 v21, 0xffffff80
	s_wait_alu 0xf1ff
	v_cndmask_b32_e64 v15, v23, v24, s2
	v_cmp_u_f32_e64 s2, v16, v16
	s_wait_alu 0xf1ff
	s_delay_alu instid0(VALU_DEP_1) | instskip(SKIP_2) | instid1(VALU_DEP_3)
	v_cndmask_b32_e64 v16, v18, v20, s2
	v_cmp_u_f32_e64 s2, v12, v12
	v_cndmask_b32_e64 v20, 0x7fffff80, v21, s0
	v_perm_b32 v12, v16, v15, 0x7060302
	s_wait_alu 0xf1ff
	s_delay_alu instid0(VALU_DEP_3) | instskip(SKIP_2) | instid1(VALU_DEP_3)
	v_cndmask_b32_e64 v18, v11, v22, s2
	v_perm_b32 v11, v14, v13, 0x7060302
	v_add_nc_u32_e32 v13, v20, v19
	v_perm_b32 v10, v18, v10, 0x7060302
	buffer_store_b128 v[9:12], v13, s[56:59], null offen
	s_wait_dscnt 0x0
	s_barrier_signal -1
	s_barrier_wait -1
	ds_store_2addr_b32 v136, v1, v2 offset1:32
	ds_store_2addr_b32 v136, v3, v4 offset0:64 offset1:96
	ds_store_2addr_b32 v136, v5, v6 offset0:128 offset1:160
	;; [unrolled: 1-line block ×3, first 2 shown]
	s_wait_dscnt 0x0
	s_barrier_signal -1
	s_barrier_wait -1
	ds_load_b128 v[1:4], v0
	ds_load_b128 v[5:8], v0 offset:16
	v_add_nc_u32_e32 v11, s5, v41
	s_wait_dscnt 0x1
	v_bfe_u32 v0, v1, 16, 1
	v_or_b32_e32 v9, 0x400000, v1
	v_bfe_u32 v10, v2, 16, 1
	v_cmp_u_f32_e64 s0, v1, v1
	v_bfe_u32 v12, v3, 16, 1
	v_add3_u32 v0, v0, v1, 0x7fff
	v_bfe_u32 v13, v4, 16, 1
	v_add3_u32 v1, v10, v2, 0x7fff
	s_wait_dscnt 0x0
	v_bfe_u32 v14, v5, 16, 1
	v_add3_u32 v10, v12, v3, 0x7fff
	s_wait_alu 0xf1ff
	v_cndmask_b32_e64 v0, v0, v9, s0
	v_or_b32_e32 v9, 0x400000, v2
	v_cmp_u_f32_e64 s0, v2, v2
	v_or_b32_e32 v12, 0x400000, v3
	v_add3_u32 v2, v13, v4, 0x7fff
	v_bfe_u32 v13, v6, 16, 1
	v_or_b32_e32 v15, 0x400000, v7
	s_wait_alu 0xf1ff
	v_cndmask_b32_e64 v9, v1, v9, s0
	v_cmp_u_f32_e64 s0, v3, v3
	v_add3_u32 v3, v14, v5, 0x7fff
	v_bfe_u32 v14, v7, 16, 1
	v_or_b32_e32 v16, 0x400000, v8
	v_perm_b32 v0, v9, v0, 0x7060302
	s_wait_alu 0xf1ff
	v_cndmask_b32_e64 v1, v10, v12, s0
	v_or_b32_e32 v10, 0x400000, v5
	v_cmp_u_f32_e64 s0, v5, v5
	v_add3_u32 v14, v14, v7, 0x7fff
	v_or_b32_e32 v12, 0x400000, v4
	s_wait_alu 0xf1ff
	s_delay_alu instid0(VALU_DEP_3)
	v_cndmask_b32_e64 v5, v3, v10, s0
	v_add3_u32 v10, v13, v6, 0x7fff
	v_or_b32_e32 v13, 0x400000, v6
	v_cmp_u_f32_e64 s0, v6, v6
	v_bfe_u32 v3, v8, 16, 1
	s_wait_alu 0xf1ff
	s_delay_alu instid0(VALU_DEP_2) | instskip(SKIP_1) | instid1(VALU_DEP_3)
	v_cndmask_b32_e64 v6, v10, v13, s0
	v_cmp_u_f32_e64 s0, v7, v7
	v_add3_u32 v3, v3, v8, 0x7fff
	s_wait_alu 0xf1ff
	s_delay_alu instid0(VALU_DEP_2) | instskip(SKIP_2) | instid1(VALU_DEP_1)
	v_cndmask_b32_e64 v7, v14, v15, s0
	v_cmp_u_f32_e64 s0, v8, v8
	s_wait_alu 0xf1ff
	v_cndmask_b32_e64 v3, v3, v16, s0
	v_cmp_u_f32_e64 s0, v4, v4
	s_delay_alu instid0(VALU_DEP_2) | instskip(SKIP_1) | instid1(VALU_DEP_2)
	v_perm_b32 v3, v3, v7, 0x7060302
	s_wait_alu 0xf1ff
	v_cndmask_b32_e64 v4, v2, v12, s0
	s_and_b32 s0, vcc_lo, s1
	v_perm_b32 v2, v6, v5, 0x7060302
	s_wait_alu 0xfffe
	v_cndmask_b32_e64 v8, 0x80000000, 0, s0
	v_perm_b32 v1, v4, v1, 0x7060302
	s_delay_alu instid0(VALU_DEP_2)
	v_lshl_add_u32 v4, v11, 1, v8
	buffer_store_b128 v[0:3], v4, s[56:59], null offen
	s_nop 0
	s_sendmsg sendmsg(MSG_DEALLOC_VGPRS)
	s_endpgm
	.section	.rodata,"a",@progbits
	.p2align	6, 0x0
	.amdhsa_kernel _ZN2ck16kernel_gemm_wmmaINS_17GridwiseGemm_WmmaILi128EDF16bDF16bffDF16bLNS_25InMemoryDataOperationEnumE0ENS_16TensorDescriptorINS_5TupleIJNS_5EmbedINS4_IJiiEEENS4_IJiNS_17integral_constantIiLi1EEEEEELb0EEENS_8RightPadIiiLb0EEESC_NS_7UnMergeINS4_IJiNS7_IiLi2EEEEEELb0EEENS_11PassThroughIiEEEEENS4_IJNS_8SequenceIJLi0EEEENSK_IJLi1EEEENSK_IJLi2EEEENSK_IJLi4EEEENSK_IJLi3EEEEEEENS4_IJNSK_IJLi1ELi2EEEESP_SO_NSK_IJLi5ELi6EEEENSK_IJLi7EEEEEEENSK_IJLi5ELi7ELi6EEEElEESW_NS3_INS4_IJSA_SC_SC_EEENS4_IJSL_SM_SN_EEENS4_IJSR_SP_SO_EEENSK_IJLi3ELi4EEEElEENS_16tensor_operation12element_wise11PassThroughES14_S14_Li64ELi128ELi64ELi16ELi16ELi2ELi2ELi4ENSK_IJLi4ELi32ELi1EEEENSK_IJLi1ELi0ELi2EEEES16_Li2ELi2ELi2ELb0ELb1ELb1ES15_S16_S16_Li2ELi2ELi2ELb0ELb1ELb1ELi1ELi1ENSK_IJLi1ELi32ELi1ELi4EEEELi8ELi1ELNS_13LoopSchedulerE0ELNS_15PipelineVersionE0EEEDF16bDF16bDF16bSW_SW_NS3_INS4_IJSA_SC_SC_NSD_INS4_IJiNS7_IiLi64EEEEEELb0EEENSD_INS4_IJiNS7_IiLi128EEEEEELb0EEEEEENS4_IJSL_SM_SN_SP_SO_EEENS4_IJSR_SP_SO_SS_NSK_IJLi7ELi8EEEEEEENSK_IJLi5ELi6ELi7ELi8EEEElEES14_S14_S14_NS_31BlockToCTileMap_M00_N0_M01AdaptILi64ELi128ES11_iEELb1EEEvPKT0_PKT1_PT2_T3_T4_T5_T6_T7_T8_T9_
		.amdhsa_group_segment_fixed_size 24824
		.amdhsa_private_segment_fixed_size 0
		.amdhsa_kernarg_size 264
		.amdhsa_user_sgpr_count 2
		.amdhsa_user_sgpr_dispatch_ptr 0
		.amdhsa_user_sgpr_queue_ptr 0
		.amdhsa_user_sgpr_kernarg_segment_ptr 1
		.amdhsa_user_sgpr_dispatch_id 0
		.amdhsa_user_sgpr_private_segment_size 0
		.amdhsa_wavefront_size32 1
		.amdhsa_uses_dynamic_stack 0
		.amdhsa_enable_private_segment 0
		.amdhsa_system_sgpr_workgroup_id_x 1
		.amdhsa_system_sgpr_workgroup_id_y 0
		.amdhsa_system_sgpr_workgroup_id_z 0
		.amdhsa_system_sgpr_workgroup_info 0
		.amdhsa_system_vgpr_workitem_id 0
		.amdhsa_next_free_vgpr 194
		.amdhsa_next_free_sgpr 73
		.amdhsa_reserve_vcc 1
		.amdhsa_float_round_mode_32 0
		.amdhsa_float_round_mode_16_64 0
		.amdhsa_float_denorm_mode_32 3
		.amdhsa_float_denorm_mode_16_64 3
		.amdhsa_fp16_overflow 0
		.amdhsa_workgroup_processor_mode 1
		.amdhsa_memory_ordered 1
		.amdhsa_forward_progress 1
		.amdhsa_inst_pref_size 109
		.amdhsa_round_robin_scheduling 0
		.amdhsa_exception_fp_ieee_invalid_op 0
		.amdhsa_exception_fp_denorm_src 0
		.amdhsa_exception_fp_ieee_div_zero 0
		.amdhsa_exception_fp_ieee_overflow 0
		.amdhsa_exception_fp_ieee_underflow 0
		.amdhsa_exception_fp_ieee_inexact 0
		.amdhsa_exception_int_div_zero 0
	.end_amdhsa_kernel
	.section	.text._ZN2ck16kernel_gemm_wmmaINS_17GridwiseGemm_WmmaILi128EDF16bDF16bffDF16bLNS_25InMemoryDataOperationEnumE0ENS_16TensorDescriptorINS_5TupleIJNS_5EmbedINS4_IJiiEEENS4_IJiNS_17integral_constantIiLi1EEEEEELb0EEENS_8RightPadIiiLb0EEESC_NS_7UnMergeINS4_IJiNS7_IiLi2EEEEEELb0EEENS_11PassThroughIiEEEEENS4_IJNS_8SequenceIJLi0EEEENSK_IJLi1EEEENSK_IJLi2EEEENSK_IJLi4EEEENSK_IJLi3EEEEEEENS4_IJNSK_IJLi1ELi2EEEESP_SO_NSK_IJLi5ELi6EEEENSK_IJLi7EEEEEEENSK_IJLi5ELi7ELi6EEEElEESW_NS3_INS4_IJSA_SC_SC_EEENS4_IJSL_SM_SN_EEENS4_IJSR_SP_SO_EEENSK_IJLi3ELi4EEEElEENS_16tensor_operation12element_wise11PassThroughES14_S14_Li64ELi128ELi64ELi16ELi16ELi2ELi2ELi4ENSK_IJLi4ELi32ELi1EEEENSK_IJLi1ELi0ELi2EEEES16_Li2ELi2ELi2ELb0ELb1ELb1ES15_S16_S16_Li2ELi2ELi2ELb0ELb1ELb1ELi1ELi1ENSK_IJLi1ELi32ELi1ELi4EEEELi8ELi1ELNS_13LoopSchedulerE0ELNS_15PipelineVersionE0EEEDF16bDF16bDF16bSW_SW_NS3_INS4_IJSA_SC_SC_NSD_INS4_IJiNS7_IiLi64EEEEEELb0EEENSD_INS4_IJiNS7_IiLi128EEEEEELb0EEEEEENS4_IJSL_SM_SN_SP_SO_EEENS4_IJSR_SP_SO_SS_NSK_IJLi7ELi8EEEEEEENSK_IJLi5ELi6ELi7ELi8EEEElEES14_S14_S14_NS_31BlockToCTileMap_M00_N0_M01AdaptILi64ELi128ES11_iEELb1EEEvPKT0_PKT1_PT2_T3_T4_T5_T6_T7_T8_T9_,"axG",@progbits,_ZN2ck16kernel_gemm_wmmaINS_17GridwiseGemm_WmmaILi128EDF16bDF16bffDF16bLNS_25InMemoryDataOperationEnumE0ENS_16TensorDescriptorINS_5TupleIJNS_5EmbedINS4_IJiiEEENS4_IJiNS_17integral_constantIiLi1EEEEEELb0EEENS_8RightPadIiiLb0EEESC_NS_7UnMergeINS4_IJiNS7_IiLi2EEEEEELb0EEENS_11PassThroughIiEEEEENS4_IJNS_8SequenceIJLi0EEEENSK_IJLi1EEEENSK_IJLi2EEEENSK_IJLi4EEEENSK_IJLi3EEEEEEENS4_IJNSK_IJLi1ELi2EEEESP_SO_NSK_IJLi5ELi6EEEENSK_IJLi7EEEEEEENSK_IJLi5ELi7ELi6EEEElEESW_NS3_INS4_IJSA_SC_SC_EEENS4_IJSL_SM_SN_EEENS4_IJSR_SP_SO_EEENSK_IJLi3ELi4EEEElEENS_16tensor_operation12element_wise11PassThroughES14_S14_Li64ELi128ELi64ELi16ELi16ELi2ELi2ELi4ENSK_IJLi4ELi32ELi1EEEENSK_IJLi1ELi0ELi2EEEES16_Li2ELi2ELi2ELb0ELb1ELb1ES15_S16_S16_Li2ELi2ELi2ELb0ELb1ELb1ELi1ELi1ENSK_IJLi1ELi32ELi1ELi4EEEELi8ELi1ELNS_13LoopSchedulerE0ELNS_15PipelineVersionE0EEEDF16bDF16bDF16bSW_SW_NS3_INS4_IJSA_SC_SC_NSD_INS4_IJiNS7_IiLi64EEEEEELb0EEENSD_INS4_IJiNS7_IiLi128EEEEEELb0EEEEEENS4_IJSL_SM_SN_SP_SO_EEENS4_IJSR_SP_SO_SS_NSK_IJLi7ELi8EEEEEEENSK_IJLi5ELi6ELi7ELi8EEEElEES14_S14_S14_NS_31BlockToCTileMap_M00_N0_M01AdaptILi64ELi128ES11_iEELb1EEEvPKT0_PKT1_PT2_T3_T4_T5_T6_T7_T8_T9_,comdat
.Lfunc_end1:
	.size	_ZN2ck16kernel_gemm_wmmaINS_17GridwiseGemm_WmmaILi128EDF16bDF16bffDF16bLNS_25InMemoryDataOperationEnumE0ENS_16TensorDescriptorINS_5TupleIJNS_5EmbedINS4_IJiiEEENS4_IJiNS_17integral_constantIiLi1EEEEEELb0EEENS_8RightPadIiiLb0EEESC_NS_7UnMergeINS4_IJiNS7_IiLi2EEEEEELb0EEENS_11PassThroughIiEEEEENS4_IJNS_8SequenceIJLi0EEEENSK_IJLi1EEEENSK_IJLi2EEEENSK_IJLi4EEEENSK_IJLi3EEEEEEENS4_IJNSK_IJLi1ELi2EEEESP_SO_NSK_IJLi5ELi6EEEENSK_IJLi7EEEEEEENSK_IJLi5ELi7ELi6EEEElEESW_NS3_INS4_IJSA_SC_SC_EEENS4_IJSL_SM_SN_EEENS4_IJSR_SP_SO_EEENSK_IJLi3ELi4EEEElEENS_16tensor_operation12element_wise11PassThroughES14_S14_Li64ELi128ELi64ELi16ELi16ELi2ELi2ELi4ENSK_IJLi4ELi32ELi1EEEENSK_IJLi1ELi0ELi2EEEES16_Li2ELi2ELi2ELb0ELb1ELb1ES15_S16_S16_Li2ELi2ELi2ELb0ELb1ELb1ELi1ELi1ENSK_IJLi1ELi32ELi1ELi4EEEELi8ELi1ELNS_13LoopSchedulerE0ELNS_15PipelineVersionE0EEEDF16bDF16bDF16bSW_SW_NS3_INS4_IJSA_SC_SC_NSD_INS4_IJiNS7_IiLi64EEEEEELb0EEENSD_INS4_IJiNS7_IiLi128EEEEEELb0EEEEEENS4_IJSL_SM_SN_SP_SO_EEENS4_IJSR_SP_SO_SS_NSK_IJLi7ELi8EEEEEEENSK_IJLi5ELi6ELi7ELi8EEEElEES14_S14_S14_NS_31BlockToCTileMap_M00_N0_M01AdaptILi64ELi128ES11_iEELb1EEEvPKT0_PKT1_PT2_T3_T4_T5_T6_T7_T8_T9_, .Lfunc_end1-_ZN2ck16kernel_gemm_wmmaINS_17GridwiseGemm_WmmaILi128EDF16bDF16bffDF16bLNS_25InMemoryDataOperationEnumE0ENS_16TensorDescriptorINS_5TupleIJNS_5EmbedINS4_IJiiEEENS4_IJiNS_17integral_constantIiLi1EEEEEELb0EEENS_8RightPadIiiLb0EEESC_NS_7UnMergeINS4_IJiNS7_IiLi2EEEEEELb0EEENS_11PassThroughIiEEEEENS4_IJNS_8SequenceIJLi0EEEENSK_IJLi1EEEENSK_IJLi2EEEENSK_IJLi4EEEENSK_IJLi3EEEEEEENS4_IJNSK_IJLi1ELi2EEEESP_SO_NSK_IJLi5ELi6EEEENSK_IJLi7EEEEEEENSK_IJLi5ELi7ELi6EEEElEESW_NS3_INS4_IJSA_SC_SC_EEENS4_IJSL_SM_SN_EEENS4_IJSR_SP_SO_EEENSK_IJLi3ELi4EEEElEENS_16tensor_operation12element_wise11PassThroughES14_S14_Li64ELi128ELi64ELi16ELi16ELi2ELi2ELi4ENSK_IJLi4ELi32ELi1EEEENSK_IJLi1ELi0ELi2EEEES16_Li2ELi2ELi2ELb0ELb1ELb1ES15_S16_S16_Li2ELi2ELi2ELb0ELb1ELb1ELi1ELi1ENSK_IJLi1ELi32ELi1ELi4EEEELi8ELi1ELNS_13LoopSchedulerE0ELNS_15PipelineVersionE0EEEDF16bDF16bDF16bSW_SW_NS3_INS4_IJSA_SC_SC_NSD_INS4_IJiNS7_IiLi64EEEEEELb0EEENSD_INS4_IJiNS7_IiLi128EEEEEELb0EEEEEENS4_IJSL_SM_SN_SP_SO_EEENS4_IJSR_SP_SO_SS_NSK_IJLi7ELi8EEEEEEENSK_IJLi5ELi6ELi7ELi8EEEElEES14_S14_S14_NS_31BlockToCTileMap_M00_N0_M01AdaptILi64ELi128ES11_iEELb1EEEvPKT0_PKT1_PT2_T3_T4_T5_T6_T7_T8_T9_
                                        ; -- End function
	.set _ZN2ck16kernel_gemm_wmmaINS_17GridwiseGemm_WmmaILi128EDF16bDF16bffDF16bLNS_25InMemoryDataOperationEnumE0ENS_16TensorDescriptorINS_5TupleIJNS_5EmbedINS4_IJiiEEENS4_IJiNS_17integral_constantIiLi1EEEEEELb0EEENS_8RightPadIiiLb0EEESC_NS_7UnMergeINS4_IJiNS7_IiLi2EEEEEELb0EEENS_11PassThroughIiEEEEENS4_IJNS_8SequenceIJLi0EEEENSK_IJLi1EEEENSK_IJLi2EEEENSK_IJLi4EEEENSK_IJLi3EEEEEEENS4_IJNSK_IJLi1ELi2EEEESP_SO_NSK_IJLi5ELi6EEEENSK_IJLi7EEEEEEENSK_IJLi5ELi7ELi6EEEElEESW_NS3_INS4_IJSA_SC_SC_EEENS4_IJSL_SM_SN_EEENS4_IJSR_SP_SO_EEENSK_IJLi3ELi4EEEElEENS_16tensor_operation12element_wise11PassThroughES14_S14_Li64ELi128ELi64ELi16ELi16ELi2ELi2ELi4ENSK_IJLi4ELi32ELi1EEEENSK_IJLi1ELi0ELi2EEEES16_Li2ELi2ELi2ELb0ELb1ELb1ES15_S16_S16_Li2ELi2ELi2ELb0ELb1ELb1ELi1ELi1ENSK_IJLi1ELi32ELi1ELi4EEEELi8ELi1ELNS_13LoopSchedulerE0ELNS_15PipelineVersionE0EEEDF16bDF16bDF16bSW_SW_NS3_INS4_IJSA_SC_SC_NSD_INS4_IJiNS7_IiLi64EEEEEELb0EEENSD_INS4_IJiNS7_IiLi128EEEEEELb0EEEEEENS4_IJSL_SM_SN_SP_SO_EEENS4_IJSR_SP_SO_SS_NSK_IJLi7ELi8EEEEEEENSK_IJLi5ELi6ELi7ELi8EEEElEES14_S14_S14_NS_31BlockToCTileMap_M00_N0_M01AdaptILi64ELi128ES11_iEELb1EEEvPKT0_PKT1_PT2_T3_T4_T5_T6_T7_T8_T9_.num_vgpr, 194
	.set _ZN2ck16kernel_gemm_wmmaINS_17GridwiseGemm_WmmaILi128EDF16bDF16bffDF16bLNS_25InMemoryDataOperationEnumE0ENS_16TensorDescriptorINS_5TupleIJNS_5EmbedINS4_IJiiEEENS4_IJiNS_17integral_constantIiLi1EEEEEELb0EEENS_8RightPadIiiLb0EEESC_NS_7UnMergeINS4_IJiNS7_IiLi2EEEEEELb0EEENS_11PassThroughIiEEEEENS4_IJNS_8SequenceIJLi0EEEENSK_IJLi1EEEENSK_IJLi2EEEENSK_IJLi4EEEENSK_IJLi3EEEEEEENS4_IJNSK_IJLi1ELi2EEEESP_SO_NSK_IJLi5ELi6EEEENSK_IJLi7EEEEEEENSK_IJLi5ELi7ELi6EEEElEESW_NS3_INS4_IJSA_SC_SC_EEENS4_IJSL_SM_SN_EEENS4_IJSR_SP_SO_EEENSK_IJLi3ELi4EEEElEENS_16tensor_operation12element_wise11PassThroughES14_S14_Li64ELi128ELi64ELi16ELi16ELi2ELi2ELi4ENSK_IJLi4ELi32ELi1EEEENSK_IJLi1ELi0ELi2EEEES16_Li2ELi2ELi2ELb0ELb1ELb1ES15_S16_S16_Li2ELi2ELi2ELb0ELb1ELb1ELi1ELi1ENSK_IJLi1ELi32ELi1ELi4EEEELi8ELi1ELNS_13LoopSchedulerE0ELNS_15PipelineVersionE0EEEDF16bDF16bDF16bSW_SW_NS3_INS4_IJSA_SC_SC_NSD_INS4_IJiNS7_IiLi64EEEEEELb0EEENSD_INS4_IJiNS7_IiLi128EEEEEELb0EEEEEENS4_IJSL_SM_SN_SP_SO_EEENS4_IJSR_SP_SO_SS_NSK_IJLi7ELi8EEEEEEENSK_IJLi5ELi6ELi7ELi8EEEElEES14_S14_S14_NS_31BlockToCTileMap_M00_N0_M01AdaptILi64ELi128ES11_iEELb1EEEvPKT0_PKT1_PT2_T3_T4_T5_T6_T7_T8_T9_.num_agpr, 0
	.set _ZN2ck16kernel_gemm_wmmaINS_17GridwiseGemm_WmmaILi128EDF16bDF16bffDF16bLNS_25InMemoryDataOperationEnumE0ENS_16TensorDescriptorINS_5TupleIJNS_5EmbedINS4_IJiiEEENS4_IJiNS_17integral_constantIiLi1EEEEEELb0EEENS_8RightPadIiiLb0EEESC_NS_7UnMergeINS4_IJiNS7_IiLi2EEEEEELb0EEENS_11PassThroughIiEEEEENS4_IJNS_8SequenceIJLi0EEEENSK_IJLi1EEEENSK_IJLi2EEEENSK_IJLi4EEEENSK_IJLi3EEEEEEENS4_IJNSK_IJLi1ELi2EEEESP_SO_NSK_IJLi5ELi6EEEENSK_IJLi7EEEEEEENSK_IJLi5ELi7ELi6EEEElEESW_NS3_INS4_IJSA_SC_SC_EEENS4_IJSL_SM_SN_EEENS4_IJSR_SP_SO_EEENSK_IJLi3ELi4EEEElEENS_16tensor_operation12element_wise11PassThroughES14_S14_Li64ELi128ELi64ELi16ELi16ELi2ELi2ELi4ENSK_IJLi4ELi32ELi1EEEENSK_IJLi1ELi0ELi2EEEES16_Li2ELi2ELi2ELb0ELb1ELb1ES15_S16_S16_Li2ELi2ELi2ELb0ELb1ELb1ELi1ELi1ENSK_IJLi1ELi32ELi1ELi4EEEELi8ELi1ELNS_13LoopSchedulerE0ELNS_15PipelineVersionE0EEEDF16bDF16bDF16bSW_SW_NS3_INS4_IJSA_SC_SC_NSD_INS4_IJiNS7_IiLi64EEEEEELb0EEENSD_INS4_IJiNS7_IiLi128EEEEEELb0EEEEEENS4_IJSL_SM_SN_SP_SO_EEENS4_IJSR_SP_SO_SS_NSK_IJLi7ELi8EEEEEEENSK_IJLi5ELi6ELi7ELi8EEEElEES14_S14_S14_NS_31BlockToCTileMap_M00_N0_M01AdaptILi64ELi128ES11_iEELb1EEEvPKT0_PKT1_PT2_T3_T4_T5_T6_T7_T8_T9_.numbered_sgpr, 73
	.set _ZN2ck16kernel_gemm_wmmaINS_17GridwiseGemm_WmmaILi128EDF16bDF16bffDF16bLNS_25InMemoryDataOperationEnumE0ENS_16TensorDescriptorINS_5TupleIJNS_5EmbedINS4_IJiiEEENS4_IJiNS_17integral_constantIiLi1EEEEEELb0EEENS_8RightPadIiiLb0EEESC_NS_7UnMergeINS4_IJiNS7_IiLi2EEEEEELb0EEENS_11PassThroughIiEEEEENS4_IJNS_8SequenceIJLi0EEEENSK_IJLi1EEEENSK_IJLi2EEEENSK_IJLi4EEEENSK_IJLi3EEEEEEENS4_IJNSK_IJLi1ELi2EEEESP_SO_NSK_IJLi5ELi6EEEENSK_IJLi7EEEEEEENSK_IJLi5ELi7ELi6EEEElEESW_NS3_INS4_IJSA_SC_SC_EEENS4_IJSL_SM_SN_EEENS4_IJSR_SP_SO_EEENSK_IJLi3ELi4EEEElEENS_16tensor_operation12element_wise11PassThroughES14_S14_Li64ELi128ELi64ELi16ELi16ELi2ELi2ELi4ENSK_IJLi4ELi32ELi1EEEENSK_IJLi1ELi0ELi2EEEES16_Li2ELi2ELi2ELb0ELb1ELb1ES15_S16_S16_Li2ELi2ELi2ELb0ELb1ELb1ELi1ELi1ENSK_IJLi1ELi32ELi1ELi4EEEELi8ELi1ELNS_13LoopSchedulerE0ELNS_15PipelineVersionE0EEEDF16bDF16bDF16bSW_SW_NS3_INS4_IJSA_SC_SC_NSD_INS4_IJiNS7_IiLi64EEEEEELb0EEENSD_INS4_IJiNS7_IiLi128EEEEEELb0EEEEEENS4_IJSL_SM_SN_SP_SO_EEENS4_IJSR_SP_SO_SS_NSK_IJLi7ELi8EEEEEEENSK_IJLi5ELi6ELi7ELi8EEEElEES14_S14_S14_NS_31BlockToCTileMap_M00_N0_M01AdaptILi64ELi128ES11_iEELb1EEEvPKT0_PKT1_PT2_T3_T4_T5_T6_T7_T8_T9_.num_named_barrier, 0
	.set _ZN2ck16kernel_gemm_wmmaINS_17GridwiseGemm_WmmaILi128EDF16bDF16bffDF16bLNS_25InMemoryDataOperationEnumE0ENS_16TensorDescriptorINS_5TupleIJNS_5EmbedINS4_IJiiEEENS4_IJiNS_17integral_constantIiLi1EEEEEELb0EEENS_8RightPadIiiLb0EEESC_NS_7UnMergeINS4_IJiNS7_IiLi2EEEEEELb0EEENS_11PassThroughIiEEEEENS4_IJNS_8SequenceIJLi0EEEENSK_IJLi1EEEENSK_IJLi2EEEENSK_IJLi4EEEENSK_IJLi3EEEEEEENS4_IJNSK_IJLi1ELi2EEEESP_SO_NSK_IJLi5ELi6EEEENSK_IJLi7EEEEEEENSK_IJLi5ELi7ELi6EEEElEESW_NS3_INS4_IJSA_SC_SC_EEENS4_IJSL_SM_SN_EEENS4_IJSR_SP_SO_EEENSK_IJLi3ELi4EEEElEENS_16tensor_operation12element_wise11PassThroughES14_S14_Li64ELi128ELi64ELi16ELi16ELi2ELi2ELi4ENSK_IJLi4ELi32ELi1EEEENSK_IJLi1ELi0ELi2EEEES16_Li2ELi2ELi2ELb0ELb1ELb1ES15_S16_S16_Li2ELi2ELi2ELb0ELb1ELb1ELi1ELi1ENSK_IJLi1ELi32ELi1ELi4EEEELi8ELi1ELNS_13LoopSchedulerE0ELNS_15PipelineVersionE0EEEDF16bDF16bDF16bSW_SW_NS3_INS4_IJSA_SC_SC_NSD_INS4_IJiNS7_IiLi64EEEEEELb0EEENSD_INS4_IJiNS7_IiLi128EEEEEELb0EEEEEENS4_IJSL_SM_SN_SP_SO_EEENS4_IJSR_SP_SO_SS_NSK_IJLi7ELi8EEEEEEENSK_IJLi5ELi6ELi7ELi8EEEElEES14_S14_S14_NS_31BlockToCTileMap_M00_N0_M01AdaptILi64ELi128ES11_iEELb1EEEvPKT0_PKT1_PT2_T3_T4_T5_T6_T7_T8_T9_.private_seg_size, 0
	.set _ZN2ck16kernel_gemm_wmmaINS_17GridwiseGemm_WmmaILi128EDF16bDF16bffDF16bLNS_25InMemoryDataOperationEnumE0ENS_16TensorDescriptorINS_5TupleIJNS_5EmbedINS4_IJiiEEENS4_IJiNS_17integral_constantIiLi1EEEEEELb0EEENS_8RightPadIiiLb0EEESC_NS_7UnMergeINS4_IJiNS7_IiLi2EEEEEELb0EEENS_11PassThroughIiEEEEENS4_IJNS_8SequenceIJLi0EEEENSK_IJLi1EEEENSK_IJLi2EEEENSK_IJLi4EEEENSK_IJLi3EEEEEEENS4_IJNSK_IJLi1ELi2EEEESP_SO_NSK_IJLi5ELi6EEEENSK_IJLi7EEEEEEENSK_IJLi5ELi7ELi6EEEElEESW_NS3_INS4_IJSA_SC_SC_EEENS4_IJSL_SM_SN_EEENS4_IJSR_SP_SO_EEENSK_IJLi3ELi4EEEElEENS_16tensor_operation12element_wise11PassThroughES14_S14_Li64ELi128ELi64ELi16ELi16ELi2ELi2ELi4ENSK_IJLi4ELi32ELi1EEEENSK_IJLi1ELi0ELi2EEEES16_Li2ELi2ELi2ELb0ELb1ELb1ES15_S16_S16_Li2ELi2ELi2ELb0ELb1ELb1ELi1ELi1ENSK_IJLi1ELi32ELi1ELi4EEEELi8ELi1ELNS_13LoopSchedulerE0ELNS_15PipelineVersionE0EEEDF16bDF16bDF16bSW_SW_NS3_INS4_IJSA_SC_SC_NSD_INS4_IJiNS7_IiLi64EEEEEELb0EEENSD_INS4_IJiNS7_IiLi128EEEEEELb0EEEEEENS4_IJSL_SM_SN_SP_SO_EEENS4_IJSR_SP_SO_SS_NSK_IJLi7ELi8EEEEEEENSK_IJLi5ELi6ELi7ELi8EEEElEES14_S14_S14_NS_31BlockToCTileMap_M00_N0_M01AdaptILi64ELi128ES11_iEELb1EEEvPKT0_PKT1_PT2_T3_T4_T5_T6_T7_T8_T9_.uses_vcc, 1
	.set _ZN2ck16kernel_gemm_wmmaINS_17GridwiseGemm_WmmaILi128EDF16bDF16bffDF16bLNS_25InMemoryDataOperationEnumE0ENS_16TensorDescriptorINS_5TupleIJNS_5EmbedINS4_IJiiEEENS4_IJiNS_17integral_constantIiLi1EEEEEELb0EEENS_8RightPadIiiLb0EEESC_NS_7UnMergeINS4_IJiNS7_IiLi2EEEEEELb0EEENS_11PassThroughIiEEEEENS4_IJNS_8SequenceIJLi0EEEENSK_IJLi1EEEENSK_IJLi2EEEENSK_IJLi4EEEENSK_IJLi3EEEEEEENS4_IJNSK_IJLi1ELi2EEEESP_SO_NSK_IJLi5ELi6EEEENSK_IJLi7EEEEEEENSK_IJLi5ELi7ELi6EEEElEESW_NS3_INS4_IJSA_SC_SC_EEENS4_IJSL_SM_SN_EEENS4_IJSR_SP_SO_EEENSK_IJLi3ELi4EEEElEENS_16tensor_operation12element_wise11PassThroughES14_S14_Li64ELi128ELi64ELi16ELi16ELi2ELi2ELi4ENSK_IJLi4ELi32ELi1EEEENSK_IJLi1ELi0ELi2EEEES16_Li2ELi2ELi2ELb0ELb1ELb1ES15_S16_S16_Li2ELi2ELi2ELb0ELb1ELb1ELi1ELi1ENSK_IJLi1ELi32ELi1ELi4EEEELi8ELi1ELNS_13LoopSchedulerE0ELNS_15PipelineVersionE0EEEDF16bDF16bDF16bSW_SW_NS3_INS4_IJSA_SC_SC_NSD_INS4_IJiNS7_IiLi64EEEEEELb0EEENSD_INS4_IJiNS7_IiLi128EEEEEELb0EEEEEENS4_IJSL_SM_SN_SP_SO_EEENS4_IJSR_SP_SO_SS_NSK_IJLi7ELi8EEEEEEENSK_IJLi5ELi6ELi7ELi8EEEElEES14_S14_S14_NS_31BlockToCTileMap_M00_N0_M01AdaptILi64ELi128ES11_iEELb1EEEvPKT0_PKT1_PT2_T3_T4_T5_T6_T7_T8_T9_.uses_flat_scratch, 0
	.set _ZN2ck16kernel_gemm_wmmaINS_17GridwiseGemm_WmmaILi128EDF16bDF16bffDF16bLNS_25InMemoryDataOperationEnumE0ENS_16TensorDescriptorINS_5TupleIJNS_5EmbedINS4_IJiiEEENS4_IJiNS_17integral_constantIiLi1EEEEEELb0EEENS_8RightPadIiiLb0EEESC_NS_7UnMergeINS4_IJiNS7_IiLi2EEEEEELb0EEENS_11PassThroughIiEEEEENS4_IJNS_8SequenceIJLi0EEEENSK_IJLi1EEEENSK_IJLi2EEEENSK_IJLi4EEEENSK_IJLi3EEEEEEENS4_IJNSK_IJLi1ELi2EEEESP_SO_NSK_IJLi5ELi6EEEENSK_IJLi7EEEEEEENSK_IJLi5ELi7ELi6EEEElEESW_NS3_INS4_IJSA_SC_SC_EEENS4_IJSL_SM_SN_EEENS4_IJSR_SP_SO_EEENSK_IJLi3ELi4EEEElEENS_16tensor_operation12element_wise11PassThroughES14_S14_Li64ELi128ELi64ELi16ELi16ELi2ELi2ELi4ENSK_IJLi4ELi32ELi1EEEENSK_IJLi1ELi0ELi2EEEES16_Li2ELi2ELi2ELb0ELb1ELb1ES15_S16_S16_Li2ELi2ELi2ELb0ELb1ELb1ELi1ELi1ENSK_IJLi1ELi32ELi1ELi4EEEELi8ELi1ELNS_13LoopSchedulerE0ELNS_15PipelineVersionE0EEEDF16bDF16bDF16bSW_SW_NS3_INS4_IJSA_SC_SC_NSD_INS4_IJiNS7_IiLi64EEEEEELb0EEENSD_INS4_IJiNS7_IiLi128EEEEEELb0EEEEEENS4_IJSL_SM_SN_SP_SO_EEENS4_IJSR_SP_SO_SS_NSK_IJLi7ELi8EEEEEEENSK_IJLi5ELi6ELi7ELi8EEEElEES14_S14_S14_NS_31BlockToCTileMap_M00_N0_M01AdaptILi64ELi128ES11_iEELb1EEEvPKT0_PKT1_PT2_T3_T4_T5_T6_T7_T8_T9_.has_dyn_sized_stack, 0
	.set _ZN2ck16kernel_gemm_wmmaINS_17GridwiseGemm_WmmaILi128EDF16bDF16bffDF16bLNS_25InMemoryDataOperationEnumE0ENS_16TensorDescriptorINS_5TupleIJNS_5EmbedINS4_IJiiEEENS4_IJiNS_17integral_constantIiLi1EEEEEELb0EEENS_8RightPadIiiLb0EEESC_NS_7UnMergeINS4_IJiNS7_IiLi2EEEEEELb0EEENS_11PassThroughIiEEEEENS4_IJNS_8SequenceIJLi0EEEENSK_IJLi1EEEENSK_IJLi2EEEENSK_IJLi4EEEENSK_IJLi3EEEEEEENS4_IJNSK_IJLi1ELi2EEEESP_SO_NSK_IJLi5ELi6EEEENSK_IJLi7EEEEEEENSK_IJLi5ELi7ELi6EEEElEESW_NS3_INS4_IJSA_SC_SC_EEENS4_IJSL_SM_SN_EEENS4_IJSR_SP_SO_EEENSK_IJLi3ELi4EEEElEENS_16tensor_operation12element_wise11PassThroughES14_S14_Li64ELi128ELi64ELi16ELi16ELi2ELi2ELi4ENSK_IJLi4ELi32ELi1EEEENSK_IJLi1ELi0ELi2EEEES16_Li2ELi2ELi2ELb0ELb1ELb1ES15_S16_S16_Li2ELi2ELi2ELb0ELb1ELb1ELi1ELi1ENSK_IJLi1ELi32ELi1ELi4EEEELi8ELi1ELNS_13LoopSchedulerE0ELNS_15PipelineVersionE0EEEDF16bDF16bDF16bSW_SW_NS3_INS4_IJSA_SC_SC_NSD_INS4_IJiNS7_IiLi64EEEEEELb0EEENSD_INS4_IJiNS7_IiLi128EEEEEELb0EEEEEENS4_IJSL_SM_SN_SP_SO_EEENS4_IJSR_SP_SO_SS_NSK_IJLi7ELi8EEEEEEENSK_IJLi5ELi6ELi7ELi8EEEElEES14_S14_S14_NS_31BlockToCTileMap_M00_N0_M01AdaptILi64ELi128ES11_iEELb1EEEvPKT0_PKT1_PT2_T3_T4_T5_T6_T7_T8_T9_.has_recursion, 0
	.set _ZN2ck16kernel_gemm_wmmaINS_17GridwiseGemm_WmmaILi128EDF16bDF16bffDF16bLNS_25InMemoryDataOperationEnumE0ENS_16TensorDescriptorINS_5TupleIJNS_5EmbedINS4_IJiiEEENS4_IJiNS_17integral_constantIiLi1EEEEEELb0EEENS_8RightPadIiiLb0EEESC_NS_7UnMergeINS4_IJiNS7_IiLi2EEEEEELb0EEENS_11PassThroughIiEEEEENS4_IJNS_8SequenceIJLi0EEEENSK_IJLi1EEEENSK_IJLi2EEEENSK_IJLi4EEEENSK_IJLi3EEEEEEENS4_IJNSK_IJLi1ELi2EEEESP_SO_NSK_IJLi5ELi6EEEENSK_IJLi7EEEEEEENSK_IJLi5ELi7ELi6EEEElEESW_NS3_INS4_IJSA_SC_SC_EEENS4_IJSL_SM_SN_EEENS4_IJSR_SP_SO_EEENSK_IJLi3ELi4EEEElEENS_16tensor_operation12element_wise11PassThroughES14_S14_Li64ELi128ELi64ELi16ELi16ELi2ELi2ELi4ENSK_IJLi4ELi32ELi1EEEENSK_IJLi1ELi0ELi2EEEES16_Li2ELi2ELi2ELb0ELb1ELb1ES15_S16_S16_Li2ELi2ELi2ELb0ELb1ELb1ELi1ELi1ENSK_IJLi1ELi32ELi1ELi4EEEELi8ELi1ELNS_13LoopSchedulerE0ELNS_15PipelineVersionE0EEEDF16bDF16bDF16bSW_SW_NS3_INS4_IJSA_SC_SC_NSD_INS4_IJiNS7_IiLi64EEEEEELb0EEENSD_INS4_IJiNS7_IiLi128EEEEEELb0EEEEEENS4_IJSL_SM_SN_SP_SO_EEENS4_IJSR_SP_SO_SS_NSK_IJLi7ELi8EEEEEEENSK_IJLi5ELi6ELi7ELi8EEEElEES14_S14_S14_NS_31BlockToCTileMap_M00_N0_M01AdaptILi64ELi128ES11_iEELb1EEEvPKT0_PKT1_PT2_T3_T4_T5_T6_T7_T8_T9_.has_indirect_call, 0
	.section	.AMDGPU.csdata,"",@progbits
; Kernel info:
; codeLenInByte = 13840
; TotalNumSgprs: 75
; NumVgprs: 194
; ScratchSize: 0
; MemoryBound: 0
; FloatMode: 240
; IeeeMode: 1
; LDSByteSize: 24824 bytes/workgroup (compile time only)
; SGPRBlocks: 0
; VGPRBlocks: 24
; NumSGPRsForWavesPerEU: 75
; NumVGPRsForWavesPerEU: 194
; Occupancy: 7
; WaveLimiterHint : 0
; COMPUTE_PGM_RSRC2:SCRATCH_EN: 0
; COMPUTE_PGM_RSRC2:USER_SGPR: 2
; COMPUTE_PGM_RSRC2:TRAP_HANDLER: 0
; COMPUTE_PGM_RSRC2:TGID_X_EN: 1
; COMPUTE_PGM_RSRC2:TGID_Y_EN: 0
; COMPUTE_PGM_RSRC2:TGID_Z_EN: 0
; COMPUTE_PGM_RSRC2:TIDIG_COMP_CNT: 0
	.section	.text._ZN2ck16kernel_gemm_wmmaINS_17GridwiseGemm_WmmaILi128EDF16bDF16bffDF16bLNS_25InMemoryDataOperationEnumE0ENS_16TensorDescriptorINS_5TupleIJNS_5EmbedINS4_IJiiEEENS4_IJiNS_17integral_constantIiLi1EEEEEELb0EEENS_8RightPadIiiLb0EEESC_NS_7UnMergeINS4_IJiNS7_IiLi2EEEEEELb0EEENS_11PassThroughIiEEEEENS4_IJNS_8SequenceIJLi0EEEENSK_IJLi1EEEENSK_IJLi2EEEENSK_IJLi4EEEENSK_IJLi3EEEEEEENS4_IJNSK_IJLi1ELi2EEEESP_SO_NSK_IJLi5ELi6EEEENSK_IJLi7EEEEEEENSK_IJLi5ELi7ELi6EEEElEESW_NS3_INS4_IJSA_SC_SC_EEENS4_IJSL_SM_SN_EEENS4_IJSR_SP_SO_EEENSK_IJLi3ELi4EEEElEENS_16tensor_operation12element_wise11PassThroughES14_S14_Li64ELi128ELi64ELi16ELi16ELi2ELi2ELi4ENSK_IJLi4ELi32ELi1EEEENSK_IJLi1ELi0ELi2EEEES16_Li2ELi2ELi2ELb0ELb1ELb1ES15_S16_S16_Li2ELi2ELi2ELb0ELb1ELb1ELi1ELi1ENSK_IJLi1ELi32ELi1ELi4EEEELi8ELi1ELNS_13LoopSchedulerE0ELNS_15PipelineVersionE0EEEDF16bDF16bDF16bSW_SW_NS3_INS4_IJSA_SC_SC_NSD_INS4_IJiNS7_IiLi64EEEEEELb0EEENSD_INS4_IJiNS7_IiLi128EEEEEELb0EEEEEENS4_IJSL_SM_SN_SP_SO_EEENS4_IJSR_SP_SO_SS_NSK_IJLi7ELi8EEEEEEENSK_IJLi5ELi6ELi7ELi8EEEElEES14_S14_S14_NS_31BlockToCTileMap_M00_N0_M01AdaptILi64ELi128ES11_iEELb0EEEvPKT0_PKT1_PT2_T3_T4_T5_T6_T7_T8_T9_,"axG",@progbits,_ZN2ck16kernel_gemm_wmmaINS_17GridwiseGemm_WmmaILi128EDF16bDF16bffDF16bLNS_25InMemoryDataOperationEnumE0ENS_16TensorDescriptorINS_5TupleIJNS_5EmbedINS4_IJiiEEENS4_IJiNS_17integral_constantIiLi1EEEEEELb0EEENS_8RightPadIiiLb0EEESC_NS_7UnMergeINS4_IJiNS7_IiLi2EEEEEELb0EEENS_11PassThroughIiEEEEENS4_IJNS_8SequenceIJLi0EEEENSK_IJLi1EEEENSK_IJLi2EEEENSK_IJLi4EEEENSK_IJLi3EEEEEEENS4_IJNSK_IJLi1ELi2EEEESP_SO_NSK_IJLi5ELi6EEEENSK_IJLi7EEEEEEENSK_IJLi5ELi7ELi6EEEElEESW_NS3_INS4_IJSA_SC_SC_EEENS4_IJSL_SM_SN_EEENS4_IJSR_SP_SO_EEENSK_IJLi3ELi4EEEElEENS_16tensor_operation12element_wise11PassThroughES14_S14_Li64ELi128ELi64ELi16ELi16ELi2ELi2ELi4ENSK_IJLi4ELi32ELi1EEEENSK_IJLi1ELi0ELi2EEEES16_Li2ELi2ELi2ELb0ELb1ELb1ES15_S16_S16_Li2ELi2ELi2ELb0ELb1ELb1ELi1ELi1ENSK_IJLi1ELi32ELi1ELi4EEEELi8ELi1ELNS_13LoopSchedulerE0ELNS_15PipelineVersionE0EEEDF16bDF16bDF16bSW_SW_NS3_INS4_IJSA_SC_SC_NSD_INS4_IJiNS7_IiLi64EEEEEELb0EEENSD_INS4_IJiNS7_IiLi128EEEEEELb0EEEEEENS4_IJSL_SM_SN_SP_SO_EEENS4_IJSR_SP_SO_SS_NSK_IJLi7ELi8EEEEEEENSK_IJLi5ELi6ELi7ELi8EEEElEES14_S14_S14_NS_31BlockToCTileMap_M00_N0_M01AdaptILi64ELi128ES11_iEELb0EEEvPKT0_PKT1_PT2_T3_T4_T5_T6_T7_T8_T9_,comdat
	.protected	_ZN2ck16kernel_gemm_wmmaINS_17GridwiseGemm_WmmaILi128EDF16bDF16bffDF16bLNS_25InMemoryDataOperationEnumE0ENS_16TensorDescriptorINS_5TupleIJNS_5EmbedINS4_IJiiEEENS4_IJiNS_17integral_constantIiLi1EEEEEELb0EEENS_8RightPadIiiLb0EEESC_NS_7UnMergeINS4_IJiNS7_IiLi2EEEEEELb0EEENS_11PassThroughIiEEEEENS4_IJNS_8SequenceIJLi0EEEENSK_IJLi1EEEENSK_IJLi2EEEENSK_IJLi4EEEENSK_IJLi3EEEEEEENS4_IJNSK_IJLi1ELi2EEEESP_SO_NSK_IJLi5ELi6EEEENSK_IJLi7EEEEEEENSK_IJLi5ELi7ELi6EEEElEESW_NS3_INS4_IJSA_SC_SC_EEENS4_IJSL_SM_SN_EEENS4_IJSR_SP_SO_EEENSK_IJLi3ELi4EEEElEENS_16tensor_operation12element_wise11PassThroughES14_S14_Li64ELi128ELi64ELi16ELi16ELi2ELi2ELi4ENSK_IJLi4ELi32ELi1EEEENSK_IJLi1ELi0ELi2EEEES16_Li2ELi2ELi2ELb0ELb1ELb1ES15_S16_S16_Li2ELi2ELi2ELb0ELb1ELb1ELi1ELi1ENSK_IJLi1ELi32ELi1ELi4EEEELi8ELi1ELNS_13LoopSchedulerE0ELNS_15PipelineVersionE0EEEDF16bDF16bDF16bSW_SW_NS3_INS4_IJSA_SC_SC_NSD_INS4_IJiNS7_IiLi64EEEEEELb0EEENSD_INS4_IJiNS7_IiLi128EEEEEELb0EEEEEENS4_IJSL_SM_SN_SP_SO_EEENS4_IJSR_SP_SO_SS_NSK_IJLi7ELi8EEEEEEENSK_IJLi5ELi6ELi7ELi8EEEElEES14_S14_S14_NS_31BlockToCTileMap_M00_N0_M01AdaptILi64ELi128ES11_iEELb0EEEvPKT0_PKT1_PT2_T3_T4_T5_T6_T7_T8_T9_ ; -- Begin function _ZN2ck16kernel_gemm_wmmaINS_17GridwiseGemm_WmmaILi128EDF16bDF16bffDF16bLNS_25InMemoryDataOperationEnumE0ENS_16TensorDescriptorINS_5TupleIJNS_5EmbedINS4_IJiiEEENS4_IJiNS_17integral_constantIiLi1EEEEEELb0EEENS_8RightPadIiiLb0EEESC_NS_7UnMergeINS4_IJiNS7_IiLi2EEEEEELb0EEENS_11PassThroughIiEEEEENS4_IJNS_8SequenceIJLi0EEEENSK_IJLi1EEEENSK_IJLi2EEEENSK_IJLi4EEEENSK_IJLi3EEEEEEENS4_IJNSK_IJLi1ELi2EEEESP_SO_NSK_IJLi5ELi6EEEENSK_IJLi7EEEEEEENSK_IJLi5ELi7ELi6EEEElEESW_NS3_INS4_IJSA_SC_SC_EEENS4_IJSL_SM_SN_EEENS4_IJSR_SP_SO_EEENSK_IJLi3ELi4EEEElEENS_16tensor_operation12element_wise11PassThroughES14_S14_Li64ELi128ELi64ELi16ELi16ELi2ELi2ELi4ENSK_IJLi4ELi32ELi1EEEENSK_IJLi1ELi0ELi2EEEES16_Li2ELi2ELi2ELb0ELb1ELb1ES15_S16_S16_Li2ELi2ELi2ELb0ELb1ELb1ELi1ELi1ENSK_IJLi1ELi32ELi1ELi4EEEELi8ELi1ELNS_13LoopSchedulerE0ELNS_15PipelineVersionE0EEEDF16bDF16bDF16bSW_SW_NS3_INS4_IJSA_SC_SC_NSD_INS4_IJiNS7_IiLi64EEEEEELb0EEENSD_INS4_IJiNS7_IiLi128EEEEEELb0EEEEEENS4_IJSL_SM_SN_SP_SO_EEENS4_IJSR_SP_SO_SS_NSK_IJLi7ELi8EEEEEEENSK_IJLi5ELi6ELi7ELi8EEEElEES14_S14_S14_NS_31BlockToCTileMap_M00_N0_M01AdaptILi64ELi128ES11_iEELb0EEEvPKT0_PKT1_PT2_T3_T4_T5_T6_T7_T8_T9_
	.globl	_ZN2ck16kernel_gemm_wmmaINS_17GridwiseGemm_WmmaILi128EDF16bDF16bffDF16bLNS_25InMemoryDataOperationEnumE0ENS_16TensorDescriptorINS_5TupleIJNS_5EmbedINS4_IJiiEEENS4_IJiNS_17integral_constantIiLi1EEEEEELb0EEENS_8RightPadIiiLb0EEESC_NS_7UnMergeINS4_IJiNS7_IiLi2EEEEEELb0EEENS_11PassThroughIiEEEEENS4_IJNS_8SequenceIJLi0EEEENSK_IJLi1EEEENSK_IJLi2EEEENSK_IJLi4EEEENSK_IJLi3EEEEEEENS4_IJNSK_IJLi1ELi2EEEESP_SO_NSK_IJLi5ELi6EEEENSK_IJLi7EEEEEEENSK_IJLi5ELi7ELi6EEEElEESW_NS3_INS4_IJSA_SC_SC_EEENS4_IJSL_SM_SN_EEENS4_IJSR_SP_SO_EEENSK_IJLi3ELi4EEEElEENS_16tensor_operation12element_wise11PassThroughES14_S14_Li64ELi128ELi64ELi16ELi16ELi2ELi2ELi4ENSK_IJLi4ELi32ELi1EEEENSK_IJLi1ELi0ELi2EEEES16_Li2ELi2ELi2ELb0ELb1ELb1ES15_S16_S16_Li2ELi2ELi2ELb0ELb1ELb1ELi1ELi1ENSK_IJLi1ELi32ELi1ELi4EEEELi8ELi1ELNS_13LoopSchedulerE0ELNS_15PipelineVersionE0EEEDF16bDF16bDF16bSW_SW_NS3_INS4_IJSA_SC_SC_NSD_INS4_IJiNS7_IiLi64EEEEEELb0EEENSD_INS4_IJiNS7_IiLi128EEEEEELb0EEEEEENS4_IJSL_SM_SN_SP_SO_EEENS4_IJSR_SP_SO_SS_NSK_IJLi7ELi8EEEEEEENSK_IJLi5ELi6ELi7ELi8EEEElEES14_S14_S14_NS_31BlockToCTileMap_M00_N0_M01AdaptILi64ELi128ES11_iEELb0EEEvPKT0_PKT1_PT2_T3_T4_T5_T6_T7_T8_T9_
	.p2align	8
	.type	_ZN2ck16kernel_gemm_wmmaINS_17GridwiseGemm_WmmaILi128EDF16bDF16bffDF16bLNS_25InMemoryDataOperationEnumE0ENS_16TensorDescriptorINS_5TupleIJNS_5EmbedINS4_IJiiEEENS4_IJiNS_17integral_constantIiLi1EEEEEELb0EEENS_8RightPadIiiLb0EEESC_NS_7UnMergeINS4_IJiNS7_IiLi2EEEEEELb0EEENS_11PassThroughIiEEEEENS4_IJNS_8SequenceIJLi0EEEENSK_IJLi1EEEENSK_IJLi2EEEENSK_IJLi4EEEENSK_IJLi3EEEEEEENS4_IJNSK_IJLi1ELi2EEEESP_SO_NSK_IJLi5ELi6EEEENSK_IJLi7EEEEEEENSK_IJLi5ELi7ELi6EEEElEESW_NS3_INS4_IJSA_SC_SC_EEENS4_IJSL_SM_SN_EEENS4_IJSR_SP_SO_EEENSK_IJLi3ELi4EEEElEENS_16tensor_operation12element_wise11PassThroughES14_S14_Li64ELi128ELi64ELi16ELi16ELi2ELi2ELi4ENSK_IJLi4ELi32ELi1EEEENSK_IJLi1ELi0ELi2EEEES16_Li2ELi2ELi2ELb0ELb1ELb1ES15_S16_S16_Li2ELi2ELi2ELb0ELb1ELb1ELi1ELi1ENSK_IJLi1ELi32ELi1ELi4EEEELi8ELi1ELNS_13LoopSchedulerE0ELNS_15PipelineVersionE0EEEDF16bDF16bDF16bSW_SW_NS3_INS4_IJSA_SC_SC_NSD_INS4_IJiNS7_IiLi64EEEEEELb0EEENSD_INS4_IJiNS7_IiLi128EEEEEELb0EEEEEENS4_IJSL_SM_SN_SP_SO_EEENS4_IJSR_SP_SO_SS_NSK_IJLi7ELi8EEEEEEENSK_IJLi5ELi6ELi7ELi8EEEElEES14_S14_S14_NS_31BlockToCTileMap_M00_N0_M01AdaptILi64ELi128ES11_iEELb0EEEvPKT0_PKT1_PT2_T3_T4_T5_T6_T7_T8_T9_,@function
_ZN2ck16kernel_gemm_wmmaINS_17GridwiseGemm_WmmaILi128EDF16bDF16bffDF16bLNS_25InMemoryDataOperationEnumE0ENS_16TensorDescriptorINS_5TupleIJNS_5EmbedINS4_IJiiEEENS4_IJiNS_17integral_constantIiLi1EEEEEELb0EEENS_8RightPadIiiLb0EEESC_NS_7UnMergeINS4_IJiNS7_IiLi2EEEEEELb0EEENS_11PassThroughIiEEEEENS4_IJNS_8SequenceIJLi0EEEENSK_IJLi1EEEENSK_IJLi2EEEENSK_IJLi4EEEENSK_IJLi3EEEEEEENS4_IJNSK_IJLi1ELi2EEEESP_SO_NSK_IJLi5ELi6EEEENSK_IJLi7EEEEEEENSK_IJLi5ELi7ELi6EEEElEESW_NS3_INS4_IJSA_SC_SC_EEENS4_IJSL_SM_SN_EEENS4_IJSR_SP_SO_EEENSK_IJLi3ELi4EEEElEENS_16tensor_operation12element_wise11PassThroughES14_S14_Li64ELi128ELi64ELi16ELi16ELi2ELi2ELi4ENSK_IJLi4ELi32ELi1EEEENSK_IJLi1ELi0ELi2EEEES16_Li2ELi2ELi2ELb0ELb1ELb1ES15_S16_S16_Li2ELi2ELi2ELb0ELb1ELb1ELi1ELi1ENSK_IJLi1ELi32ELi1ELi4EEEELi8ELi1ELNS_13LoopSchedulerE0ELNS_15PipelineVersionE0EEEDF16bDF16bDF16bSW_SW_NS3_INS4_IJSA_SC_SC_NSD_INS4_IJiNS7_IiLi64EEEEEELb0EEENSD_INS4_IJiNS7_IiLi128EEEEEELb0EEEEEENS4_IJSL_SM_SN_SP_SO_EEENS4_IJSR_SP_SO_SS_NSK_IJLi7ELi8EEEEEEENSK_IJLi5ELi6ELi7ELi8EEEElEES14_S14_S14_NS_31BlockToCTileMap_M00_N0_M01AdaptILi64ELi128ES11_iEELb0EEEvPKT0_PKT1_PT2_T3_T4_T5_T6_T7_T8_T9_: ; @_ZN2ck16kernel_gemm_wmmaINS_17GridwiseGemm_WmmaILi128EDF16bDF16bffDF16bLNS_25InMemoryDataOperationEnumE0ENS_16TensorDescriptorINS_5TupleIJNS_5EmbedINS4_IJiiEEENS4_IJiNS_17integral_constantIiLi1EEEEEELb0EEENS_8RightPadIiiLb0EEESC_NS_7UnMergeINS4_IJiNS7_IiLi2EEEEEELb0EEENS_11PassThroughIiEEEEENS4_IJNS_8SequenceIJLi0EEEENSK_IJLi1EEEENSK_IJLi2EEEENSK_IJLi4EEEENSK_IJLi3EEEEEEENS4_IJNSK_IJLi1ELi2EEEESP_SO_NSK_IJLi5ELi6EEEENSK_IJLi7EEEEEEENSK_IJLi5ELi7ELi6EEEElEESW_NS3_INS4_IJSA_SC_SC_EEENS4_IJSL_SM_SN_EEENS4_IJSR_SP_SO_EEENSK_IJLi3ELi4EEEElEENS_16tensor_operation12element_wise11PassThroughES14_S14_Li64ELi128ELi64ELi16ELi16ELi2ELi2ELi4ENSK_IJLi4ELi32ELi1EEEENSK_IJLi1ELi0ELi2EEEES16_Li2ELi2ELi2ELb0ELb1ELb1ES15_S16_S16_Li2ELi2ELi2ELb0ELb1ELb1ELi1ELi1ENSK_IJLi1ELi32ELi1ELi4EEEELi8ELi1ELNS_13LoopSchedulerE0ELNS_15PipelineVersionE0EEEDF16bDF16bDF16bSW_SW_NS3_INS4_IJSA_SC_SC_NSD_INS4_IJiNS7_IiLi64EEEEEELb0EEENSD_INS4_IJiNS7_IiLi128EEEEEELb0EEEEEENS4_IJSL_SM_SN_SP_SO_EEENS4_IJSR_SP_SO_SS_NSK_IJLi7ELi8EEEEEEENSK_IJLi5ELi6ELi7ELi8EEEElEES14_S14_S14_NS_31BlockToCTileMap_M00_N0_M01AdaptILi64ELi128ES11_iEELb0EEEvPKT0_PKT1_PT2_T3_T4_T5_T6_T7_T8_T9_
; %bb.0:
	s_load_b96 s[4:6], s[0:1], 0xfc
	s_abs_i32 s9, ttmp9
	v_lshrrev_b32_e32 v40, 1, v0
	s_mov_b32 s43, 0x31004000
	v_and_b32_e32 v50, 0xfc, v0
	v_lshrrev_b32_e32 v59, 2, v0
	v_and_b32_e32 v58, 15, v0
	v_and_b32_e32 v47, 0x7e, v40
	;; [unrolled: 1-line block ×3, first 2 shown]
	v_lshlrev_b32_e32 v60, 1, v0
	v_and_b32_e32 v57, 32, v0
	v_lshlrev_b32_e32 v58, 2, v58
	v_lshrrev_b32_e32 v99, 7, v0
	v_and_or_b32 v40, v59, 16, v40
	v_and_b32_e32 v60, 64, v60
	v_bfe_u32 v100, v0, 2, 5
	v_lshl_or_b32 v57, v57, 1, v58
	s_load_b64 s[44:45], s[0:1], 0x10
	v_lshlrev_b32_e32 v40, 7, v40
	s_wait_kmcnt 0x0
	s_add_co_i32 s2, s4, 63
	s_add_co_i32 s3, s5, 0x7f
	s_ashr_i32 s4, s2, 31
	s_ashr_i32 s5, s3, 31
	s_lshr_b32 s4, s4, 26
	s_lshr_b32 s5, s5, 25
	s_add_co_i32 s2, s2, s4
	s_add_co_i32 s3, s3, s5
	s_ashr_i32 s4, s2, 6
	s_ashr_i32 s3, s3, 7
	s_delay_alu instid0(SALU_CYCLE_1) | instskip(NEXT) | instid1(SALU_CYCLE_1)
	s_mul_i32 s5, s3, s4
	s_abs_i32 s5, s5
	s_delay_alu instid0(SALU_CYCLE_1) | instskip(SKIP_1) | instid1(SALU_CYCLE_2)
	s_cvt_f32_u32 s7, s5
	s_sub_co_i32 s8, 0, s5
	v_rcp_iflag_f32_e32 v1, s7
	s_delay_alu instid0(TRANS32_DEP_1) | instskip(SKIP_2) | instid1(SALU_CYCLE_2)
	v_readfirstlane_b32 s7, v1
	s_mul_f32 s7, s7, 0x4f7ffffe
	s_wait_alu 0xfffe
	s_cvt_u32_f32 s7, s7
	s_wait_alu 0xfffe
	s_delay_alu instid0(SALU_CYCLE_2) | instskip(NEXT) | instid1(SALU_CYCLE_1)
	s_mul_i32 s8, s8, s7
	s_mul_hi_u32 s8, s7, s8
	s_delay_alu instid0(SALU_CYCLE_1)
	s_add_co_i32 s7, s7, s8
	s_ashr_i32 s8, ttmp9, 31
	s_wait_alu 0xfffe
	s_mul_hi_u32 s7, s9, s7
	s_wait_alu 0xfffe
	s_mul_i32 s7, s7, s5
	s_wait_alu 0xfffe
	s_sub_co_i32 s7, s9, s7
	s_wait_alu 0xfffe
	s_sub_co_i32 s9, s7, s5
	s_cmp_ge_u32 s7, s5
	s_cselect_b32 s7, s9, s7
	s_wait_alu 0xfffe
	s_sub_co_i32 s9, s7, s5
	s_cmp_ge_u32 s7, s5
	s_cselect_b32 s5, s9, s7
	s_abs_i32 s7, s3
	s_xor_b32 s5, s5, s8
	s_wait_alu 0xfffe
	s_cvt_f32_u32 s9, s7
	s_sub_co_i32 s10, 0, s7
	s_sub_co_i32 s5, s5, s8
	s_delay_alu instid0(SALU_CYCLE_1) | instskip(NEXT) | instid1(TRANS32_DEP_1)
	v_rcp_iflag_f32_e32 v1, s9
	v_readfirstlane_b32 s9, v1
	s_mul_f32 s9, s9, 0x4f7ffffe
	s_wait_alu 0xfffe
	s_delay_alu instid0(SALU_CYCLE_2) | instskip(SKIP_1) | instid1(SALU_CYCLE_2)
	s_cvt_u32_f32 s9, s9
	s_wait_alu 0xfffe
	s_mul_i32 s10, s10, s9
	s_delay_alu instid0(SALU_CYCLE_1)
	s_mul_hi_u32 s8, s9, s10
	s_abs_i32 s10, s5
	s_wait_alu 0xfffe
	s_add_co_i32 s9, s9, s8
	s_wait_alu 0xfffe
	s_mul_hi_u32 s8, s10, s9
	s_xor_b32 s9, s5, s3
	s_wait_alu 0xfffe
	s_mul_i32 s11, s8, s7
	s_ashr_i32 s9, s9, 31
	s_sub_co_i32 s10, s10, s11
	s_add_co_i32 s11, s8, 1
	s_sub_co_i32 s12, s10, s7
	s_cmp_ge_u32 s10, s7
	s_cselect_b32 s8, s11, s8
	s_cselect_b32 s10, s12, s10
	s_wait_alu 0xfffe
	s_add_co_i32 s11, s8, 1
	s_cmp_ge_u32 s10, s7
	s_cselect_b32 s7, s11, s8
	s_abs_i32 s8, s6
	s_abs_i32 s12, s4
	s_wait_alu 0xfffe
	s_cvt_f32_u32 s10, s8
	s_sub_co_i32 s11, 0, s8
	s_xor_b32 s7, s7, s9
	s_ashr_i32 s2, s2, 31
	v_rcp_iflag_f32_e32 v1, s10
	s_wait_alu 0xfffe
	s_sub_co_i32 s9, s7, s9
	s_delay_alu instid0(TRANS32_DEP_1) | instskip(SKIP_2) | instid1(SALU_CYCLE_2)
	v_readfirstlane_b32 s10, v1
	s_mul_f32 s10, s10, 0x4f7ffffe
	s_wait_alu 0xfffe
	s_cvt_u32_f32 s10, s10
	s_wait_alu 0xfffe
	s_delay_alu instid0(SALU_CYCLE_2)
	s_mul_i32 s11, s11, s10
	s_wait_alu 0xfffe
	s_mul_hi_u32 s11, s10, s11
	s_wait_alu 0xfffe
	s_add_co_i32 s10, s10, s11
	s_wait_alu 0xfffe
	s_mul_hi_u32 s11, s12, s10
	s_wait_alu 0xfffe
	s_mul_i32 s11, s11, s8
	s_wait_alu 0xfffe
	s_sub_co_i32 s11, s12, s11
	s_wait_alu 0xfffe
	s_sub_co_i32 s7, s11, s8
	s_cmp_ge_u32 s11, s8
	s_wait_alu 0xfffe
	s_cselect_b32 s7, s7, s11
	s_wait_alu 0xfffe
	s_sub_co_i32 s11, s7, s8
	s_cmp_ge_u32 s7, s8
	s_wait_alu 0xfffe
	s_cselect_b32 s7, s11, s7
	s_load_b32 s11, s[0:1], 0x20
	s_xor_b32 s7, s7, s2
	s_wait_alu 0xfffe
	s_sub_co_i32 s2, s7, s2
	s_mul_i32 s7, s9, s3
	s_sub_co_i32 s4, s4, s2
	s_delay_alu instid0(SALU_CYCLE_1)
	s_cmp_lt_i32 s9, s4
	s_cselect_b32 s2, s6, s2
	s_abs_i32 s4, s9
	s_wait_alu 0xfffe
	s_sub_co_i32 s5, s5, s7
	s_mul_hi_u32 s6, s4, s10
	s_wait_alu 0xfffe
	s_mul_i32 s6, s6, s8
	s_wait_alu 0xfffe
	s_sub_co_i32 s4, s4, s6
	s_ashr_i32 s6, s9, 31
	s_sub_co_i32 s7, s4, s8
	s_cmp_ge_u32 s4, s8
	s_wait_alu 0xfffe
	s_cselect_b32 s4, s7, s4
	s_delay_alu instid0(SALU_CYCLE_1)
	s_sub_co_i32 s7, s4, s8
	s_cmp_ge_u32 s4, s8
	s_wait_alu 0xfffe
	s_cselect_b32 s4, s7, s4
	s_abs_i32 s7, s2
	s_xor_b32 s4, s4, s6
	s_wait_alu 0xfffe
	s_cvt_f32_u32 s8, s7
	s_sub_co_i32 s10, s4, s6
	s_sub_co_i32 s4, 0, s7
	s_wait_alu 0xfffe
	s_mul_i32 s3, s10, s3
	v_rcp_iflag_f32_e32 v1, s8
	s_add_co_i32 s3, s3, s5
	s_delay_alu instid0(SALU_CYCLE_1) | instskip(SKIP_3) | instid1(TRANS32_DEP_1)
	s_abs_i32 s5, s3
	s_xor_b32 s6, s3, s2
	s_wait_alu 0xfffe
	s_ashr_i32 s12, s6, 31
	v_readfirstlane_b32 s8, v1
	v_lshlrev_b32_e32 v1, 3, v0
	s_mul_f32 s8, s8, 0x4f7ffffe
	s_delay_alu instid0(VALU_DEP_1) | instskip(SKIP_1) | instid1(SALU_CYCLE_1)
	v_and_b32_e32 v23, 24, v1
	s_wait_alu 0xfffe
	s_cvt_u32_f32 s8, s8
	s_delay_alu instid0(VALU_DEP_1)
	v_lshlrev_b32_e32 v22, 1, v23
	v_mul_u32_u24_e32 v61, 0x104, v23
	s_wait_alu 0xfffe
	s_mul_i32 s4, s4, s8
	v_lshlrev_b32_e32 v62, 8, v23
	s_mul_hi_u32 s4, s8, s4
	v_or_b32_e32 v65, 8, v22
	s_add_co_i32 s8, s8, s4
	v_or_b32_e32 v66, 10, v22
	s_wait_alu 0xfffe
	s_mul_hi_u32 s4, s5, s8
	v_or_b32_e32 v59, 2, v22
	s_mul_i32 s8, s4, s7
	s_add_co_i32 s6, s4, 1
	s_wait_alu 0xfffe
	s_sub_co_i32 s5, s5, s8
	v_or_b32_e32 v63, 4, v22
	s_sub_co_i32 s8, s5, s7
	s_cmp_ge_u32 s5, s7
	v_or_b32_e32 v64, 6, v22
	s_cselect_b32 s4, s6, s4
	s_wait_alu 0xfffe
	s_cselect_b32 s5, s8, s5
	s_add_co_i32 s6, s4, 1
	s_cmp_ge_u32 s5, s7
	v_or_b32_e32 v67, 12, v22
	s_wait_alu 0xfffe
	s_cselect_b32 s8, s6, s4
	s_load_b128 s[4:7], s[0:1], 0x0
	s_xor_b32 s8, s8, s12
	s_sub_co_i32 s47, s9, s10
	s_wait_alu 0xfffe
	s_sub_co_i32 s46, s8, s12
	v_or_b32_e32 v68, 14, v22
	s_mul_i32 s2, s46, s2
	v_lshl_add_u32 v55, s46, 7, v50
	s_sub_co_i32 s2, s3, s2
	s_load_b32 s3, s[0:1], 0x58
	s_add_co_i32 s47, s47, s2
	s_clause 0x5
	s_load_b32 s22, s[0:1], 0x2c
	s_load_b32 s9, s[0:1], 0x38
	s_load_b32 s2, s[0:1], 0x68
	s_load_b32 s21, s[0:1], 0x74
	s_load_b32 s16, s[0:1], 0x80
	s_load_b32 s8, s[0:1], 0xa0
	v_lshl_add_u32 v24, s47, 6, v47
	v_lshlrev_b32_e32 v50, 2, v50
	v_lshlrev_b32_e32 v47, 2, v47
	s_and_b32 s45, s45, 0xffff
	s_wait_kmcnt 0x0
	v_mad_co_u64_u32 v[5:6], null, v24, s11, v[22:23]
	v_add3_u32 v61, v61, v62, v50
	v_or3_b32 v50, v40, v60, v58
	s_mov_b32 s40, s4
	s_and_b32 s41, s5, 0xffff
	v_or_b32_e32 v40, 2, v55
	v_mad_u32_u24 v47, 0x104, v23, v47
	v_lshlrev_b32_e32 v6, 1, v5
	v_cmp_gt_i32_e64 s18, s22, v24
	v_cmp_gt_i32_e64 s4, s9, v63
	v_mad_co_u64_u32 v[9:10], null, v55, s2, v[22:23]
	s_lshl_b32 s42, s3, 1
	s_clause 0x1
	buffer_load_b128 v[1:4], v6, s[40:43], null offen
	buffer_load_b96 v[13:15], v6, s[40:43], null offen offset:16
	v_add_lshl_u32 v6, v5, s11, 1
	v_add_nc_u32_e32 v5, 14, v5
	v_cmp_gt_i32_e64 s3, s9, v59
	v_lshlrev_b32_e32 v10, 1, v9
	v_add_nc_u32_e32 v11, 14, v9
	buffer_load_b32 v37, v6, s[40:43], null offen
	v_lshlrev_b32_e32 v6, 1, v5
	v_add_lshl_u32 v5, v5, s11, 1
	s_clause 0x1
	buffer_load_b32 v33, v6, s[40:43], null offen
	buffer_load_b32 v31, v5, s[40:43], null offen
	v_add_nc_u32_e32 v6, -4, v5
	v_add_nc_u32_e32 v7, -8, v5
	v_subrev_nc_u32_e32 v8, 20, v5
	v_add_nc_u32_e32 v9, s2, v9
	v_cmp_gt_i32_e64 s5, s9, v64
	s_clause 0x2
	buffer_load_b32 v28, v6, s[40:43], null offen
	buffer_load_b32 v29, v7, s[40:43], null offen
	buffer_load_b32 v26, v8, s[40:43], null offen
	v_add_nc_u32_e32 v6, -12, v5
	v_add_nc_u32_e32 v7, -16, v5
	v_subrev_nc_u32_e32 v5, 24, v5
	v_add_nc_u32_e32 v53, s2, v9
	v_lshlrev_b32_e32 v9, 1, v9
	s_clause 0x2
	buffer_load_b32 v30, v6, s[40:43], null offen
	buffer_load_b32 v27, v7, s[40:43], null offen
	buffer_load_b32 v25, v5, s[40:43], null offen
	s_lshl_b32 s42, s8, 1
	s_and_b32 s41, s7, 0xffff
	s_mov_b32 s40, s6
	v_add_nc_u32_e32 v38, 14, v53
	s_clause 0x1
	buffer_load_b128 v[5:8], v10, s[40:43], null offen
	buffer_load_b96 v[16:18], v10, s[40:43], null offen offset:16
	v_lshlrev_b32_e32 v10, 1, v11
	v_add_lshl_u32 v11, v11, s2, 1
	v_add_lshl_u32 v52, v38, s2, 1
	v_lshlrev_b32_e32 v19, 1, v53
	v_lshlrev_b32_e32 v42, 1, v38
	s_clause 0x1
	buffer_load_b32 v32, v10, s[40:43], null offen
	buffer_load_b32 v34, v11, s[40:43], null offen
	v_add_nc_u32_e32 v10, -4, v11
	v_add_nc_u32_e32 v12, -8, v11
	v_add_nc_u32_e32 v44, -4, v52
	v_add_nc_u32_e32 v46, -8, v52
	v_add_nc_u32_e32 v49, -12, v52
	s_clause 0x1
	buffer_load_b32 v35, v10, s[40:43], null offen
	buffer_load_b32 v36, v12, s[40:43], null offen
	v_add_nc_u32_e32 v10, -12, v11
	v_add_nc_u32_e32 v12, -16, v11
	;; [unrolled: 1-line block ×3, first 2 shown]
	v_subrev_nc_u32_e32 v54, 20, v52
	v_subrev_nc_u32_e32 v56, 24, v52
	s_clause 0x1
	buffer_load_b32 v41, v10, s[40:43], null offen
	buffer_load_b32 v39, v12, s[40:43], null offen
	v_subrev_nc_u32_e32 v10, 20, v11
	v_subrev_nc_u32_e32 v11, 24, v11
	v_add_lshl_u32 v53, v53, s2, 1
	v_cmp_gt_i32_e64 s6, s9, v65
	v_cmp_gt_i32_e64 s7, s9, v66
	s_clause 0xd
	buffer_load_b32 v48, v10, s[40:43], null offen
	buffer_load_b32 v45, v11, s[40:43], null offen
	;; [unrolled: 1-line block ×3, first 2 shown]
	buffer_load_b128 v[9:12], v19, s[40:43], null offen
	buffer_load_b96 v[19:21], v19, s[40:43], null offen offset:16
	buffer_load_b32 v38, v42, s[40:43], null offen
	buffer_load_b32 v44, v44, s[40:43], null offen
	;; [unrolled: 1-line block ×9, first 2 shown]
	v_bfe_u32 v56, v0, 4, 1
	v_and_or_b32 v0, 0xc0, v0, v58
	v_or_b32_e32 v58, 1, v24
	v_cmp_gt_i32_e64 s2, s9, v22
	v_cmp_gt_i32_e64 s8, s9, v67
	;; [unrolled: 1-line block ×3, first 2 shown]
	v_mad_u32_u24 v62, 0x104, v56, v0
	v_mad_u32_u24 v0, 0x204, v56, v57
	v_cmp_gt_i32_e64 s22, s22, v58
	s_and_b32 s27, s6, s18
	s_and_b32 s28, s7, s18
	;; [unrolled: 1-line block ×3, first 2 shown]
	v_add_nc_u32_e32 v72, 0x2800, v0
	v_add_nc_u32_e32 v73, 0x2400, v0
	;; [unrolled: 1-line block ×16, first 2 shown]
	v_or_b32_e32 v0, 1, v55
	v_or_b32_e32 v55, 3, v55
	s_and_b32 s24, s3, s18
	s_and_b32 s25, s4, s18
	;; [unrolled: 1-line block ×5, first 2 shown]
	v_cmp_gt_i32_e64 s19, s21, v0
	v_cmp_gt_i32_e64 s20, s21, v40
	;; [unrolled: 1-line block ×4, first 2 shown]
	v_cmp_gt_i32_e32 vcc_lo, s16, v22
	v_cmp_gt_i32_e64 s10, s16, v59
	v_cmp_gt_i32_e64 s11, s16, v63
	;; [unrolled: 1-line block ×7, first 2 shown]
	s_and_b32 s6, s6, s22
	s_and_b32 s5, s5, s22
	;; [unrolled: 1-line block ×10, first 2 shown]
	s_and_b32 s34, vcc_lo, s20
	s_and_b32 s35, s10, s20
	s_and_b32 s36, s11, s20
	;; [unrolled: 1-line block ×7, first 2 shown]
	v_add_nc_u32_e32 v71, 0x400, v62
	v_add_nc_u32_e32 v22, 0x514, v47
	;; [unrolled: 1-line block ×19, first 2 shown]
	s_wait_loadcnt 0x20
	s_wait_alu 0xfffe
	v_cndmask_b32_e64 v0, 0, v1, s23
	s_wait_loadcnt 0x1f
	v_cndmask_b32_e64 v58, 0, v13, s27
	v_lshrrev_b32_e32 v13, 16, v13
	v_cndmask_b32_e64 v60, 0, v14, s28
	v_lshrrev_b32_e32 v14, 16, v14
	v_lshrrev_b32_e32 v1, 16, v1
	v_cndmask_b32_e64 v24, 0, v2, s24
	v_lshrrev_b32_e32 v2, 16, v2
	v_cndmask_b32_e64 v40, 0, v3, s25
	;; [unrolled: 2-line block ×4, first 2 shown]
	v_lshrrev_b32_e32 v15, 16, v15
	s_wait_loadcnt 0x1e
	v_cndmask_b32_e64 v95, 0, v37, s2
	v_lshrrev_b32_e32 v37, 16, v37
	v_cndmask_b32_e64 v96, 0, v13, s27
	v_cndmask_b32_e64 v97, 0, v14, s28
	s_wait_loadcnt 0x1d
	v_lshrrev_b32_e32 v13, 16, v33
	s_wait_loadcnt 0x1c
	v_lshrrev_b32_e32 v14, 16, v31
	v_cndmask_b32_e64 v1, 0, v1, s23
	v_cndmask_b32_e64 v2, 0, v2, s24
	;; [unrolled: 1-line block ×6, first 2 shown]
	s_and_b32 s2, s8, s22
	s_wait_loadcnt 0x19
	v_lshrrev_b32_e32 v107, 16, v26
	s_wait_alu 0xfffe
	v_cndmask_b32_e64 v102, 0, v28, s2
	v_lshrrev_b32_e32 v28, 16, v28
	s_wait_loadcnt 0x18
	v_cndmask_b32_e64 v104, 0, v30, s6
	v_lshrrev_b32_e32 v30, 16, v30
	s_wait_loadcnt 0x17
	;; [unrolled: 3-line block ×3, first 2 shown]
	v_cndmask_b32_e64 v108, 0, v25, s3
	v_lshrrev_b32_e32 v25, 16, v25
	v_cndmask_b32_e64 v101, 0, v33, s18
	v_cndmask_b32_e64 v31, 0, v31, s9
	;; [unrolled: 1-line block ×4, first 2 shown]
	s_and_b32 s8, vcc_lo, s17
	s_and_b32 s9, s10, s17
	s_and_b32 s18, s11, s17
	;; [unrolled: 1-line block ×11, first 2 shown]
	s_and_b32 s19, vcc_lo, s19
	s_and_b32 s16, s16, s21
	s_and_b32 s15, s15, s21
	;; [unrolled: 1-line block ×6, first 2 shown]
	s_and_b32 vcc_lo, vcc_lo, s21
	s_and_b32 s10, s10, s21
	v_cndmask_b32_e64 v103, 0, v29, s7
	v_lshrrev_b32_e32 v29, 16, v29
	v_cndmask_b32_e64 v106, 0, v26, s4
	v_perm_b32 v14, v15, v95, 0x5040100
	v_perm_b32 v13, v1, v0, 0x5040100
	;; [unrolled: 1-line block ×8, first 2 shown]
	s_wait_loadcnt 0x15
	s_wait_alu 0xfffe
	v_cndmask_b32_e64 v0, 0, v5, s8
	v_lshrrev_b32_e32 v1, 16, v5
	v_cndmask_b32_e64 v2, 0, v6, s9
	v_lshrrev_b32_e32 v3, 16, v6
	;; [unrolled: 2-line block ×4, first 2 shown]
	s_wait_loadcnt 0x14
	v_cndmask_b32_e64 v58, 0, v16, s23
	v_lshrrev_b32_e32 v8, 16, v16
	v_cndmask_b32_e64 v60, 0, v17, s24
	v_lshrrev_b32_e32 v16, 16, v17
	;; [unrolled: 2-line block ×3, first 2 shown]
	s_wait_loadcnt 0x13
	v_cndmask_b32_e64 v94, 0, v32, s17
	v_lshrrev_b32_e32 v32, 16, v32
	s_wait_loadcnt 0x12
	v_cndmask_b32_e64 v96, 0, v34, s26
	v_lshrrev_b32_e32 v34, 16, v34
	;; [unrolled: 3-line block ×10, first 2 shown]
	v_cndmask_b32_e64 v115, 0, v10, s35
	v_lshrrev_b32_e32 v10, 16, v10
	v_cndmask_b32_e64 v117, 0, v12, s37
	v_lshrrev_b32_e32 v12, 16, v12
	s_wait_loadcnt 0x9
	v_cndmask_b32_e64 v118, 0, v19, s38
	v_lshrrev_b32_e32 v19, 16, v19
	v_cndmask_b32_e64 v119, 0, v20, s39
	v_lshrrev_b32_e32 v20, 16, v20
	;; [unrolled: 2-line block ×3, first 2 shown]
	s_wait_loadcnt 0x8
	v_cndmask_b32_e64 v121, 0, v38, s20
	v_lshrrev_b32_e32 v38, 16, v38
	s_wait_loadcnt 0x5
	v_cndmask_b32_e64 v122, 0, v42, s16
	v_lshrrev_b32_e32 v42, 16, v42
	v_cndmask_b32_e64 v123, 0, v44, s15
	v_lshrrev_b32_e32 v44, 16, v44
	;; [unrolled: 2-line block ×3, first 2 shown]
	s_wait_loadcnt 0x4
	v_cndmask_b32_e64 v125, 0, v49, s13
	v_lshrrev_b32_e32 v49, 16, v49
	s_wait_loadcnt 0x3
	v_cndmask_b32_e64 v126, 0, v51, s12
	v_lshrrev_b32_e32 v51, 16, v51
	;; [unrolled: 3-line block ×3, first 2 shown]
	s_wait_loadcnt 0x0
	v_cndmask_b32_e32 v129, 0, v53, vcc_lo
	v_lshrrev_b32_e32 v53, 16, v53
	v_cndmask_b32_e64 v116, 0, v11, s36
	v_lshrrev_b32_e32 v11, 16, v11
	v_cndmask_b32_e64 v128, 0, v54, s10
	;; [unrolled: 2-line block ×3, first 2 shown]
	v_cndmask_b32_e64 v28, 0, v28, s2
	v_cndmask_b32_e64 v30, 0, v30, s6
	;; [unrolled: 1-line block ×5, first 2 shown]
	v_perm_b32 v31, v37, v31, 0x5040100
	v_perm_b32 v33, v33, v101, 0x5040100
	v_cndmask_b32_e64 v1, 0, v1, s8
	v_cndmask_b32_e64 v3, 0, v3, s9
	;; [unrolled: 1-line block ×29, first 2 shown]
	v_cndmask_b32_e32 v53, 0, v53, vcc_lo
	v_cndmask_b32_e64 v11, 0, v11, s36
	v_cndmask_b32_e64 v52, 0, v54, s10
	v_perm_b32 v16, v107, v106, 0x5040100
	v_perm_b32 v54, v25, v108, 0x5040100
	;; [unrolled: 1-line block ×38, first 2 shown]
	ds_store_2addr_b64 v47, v[13:14], v[15:16] offset1:65
	ds_store_2addr_b64 v47, v[24:25], v[26:27] offset0:130 offset1:195
	ds_store_2addr_b32 v47, v95, v54 offset0:65 offset1:66
	ds_store_2addr_b32 v47, v40, v105 offset0:195 offset1:196
	ds_store_2addr_b32 v22, v55, v29 offset1:1
	ds_store_2addr_b32 v56, v33, v31 offset1:1
	ds_store_2addr_b64 v70, v[17:18], v[19:20] offset1:1
	ds_store_2addr_b32 v57, v28, v30 offset1:1
	ds_store_2addr_b32 v59, v43, v32 offset1:1
	;; [unrolled: 1-line block ×4, first 2 shown]
	ds_store_2addr_b64 v65, v[8:9], v[10:11] offset1:1
	ds_store_2addr_b32 v66, v12, v37 offset1:1
	ds_store_b128 v61, v[0:3] offset:8832
	ds_store_b128 v61, v[4:7] offset:10896
	ds_store_2addr_b32 v67, v39, v38 offset1:1
	ds_store_2addr_b32 v68, v36, v35 offset1:1
	;; [unrolled: 1-line block ×3, first 2 shown]
	s_wait_dscnt 0x0
	s_barrier_signal -1
	s_barrier_wait -1
	ds_load_2addr_b32 v[60:61], v62 offset1:32
	ds_load_2addr_b32 v[4:5], v62 offset0:130 offset1:162
	ds_load_2addr_b32 v[62:63], v71 offset0:4 offset1:36
	;; [unrolled: 1-line block ×42, first 2 shown]
	s_wait_dscnt 0x24
	v_dual_mov_b32 v8, v24 :: v_dual_mov_b32 v9, v36
	s_wait_dscnt 0x23
	v_dual_mov_b32 v10, v20 :: v_dual_mov_b32 v11, v38
	v_mov_b32_e32 v20, v61
	v_dual_mov_b32 v22, v63 :: v_dual_mov_b32 v61, v4
	s_wait_dscnt 0x18
	v_dual_mov_b32 v63, v6 :: v_dual_mov_b32 v16, v28
	v_dual_mov_b32 v17, v40 :: v_dual_mov_b32 v18, v26
	s_wait_dscnt 0x17
	v_dual_mov_b32 v19, v42 :: v_dual_mov_b32 v28, v69
	v_mov_b32_e32 v30, v71
	s_wait_dscnt 0xc
	v_dual_mov_b32 v12, v58 :: v_dual_mov_b32 v69, v115
	v_mov_b32_e32 v71, v117
	v_wmma_f32_16x16x16_bf16 v[51:58], v[60:63], v[8:11], 0
	v_dual_mov_b32 v13, v44 :: v_dual_mov_b32 v14, v48
	s_wait_dscnt 0xb
	v_dual_mov_b32 v15, v46 :: v_dual_mov_b32 v24, v77
	v_dual_mov_b32 v26, v79 :: v_dual_mov_b32 v77, v123
	v_mov_b32_e32 v79, v125
	v_wmma_f32_16x16x16_bf16 v[51:58], v[68:71], v[16:19], v[51:58]
	s_wait_dscnt 0x1
	v_dual_mov_b32 v0, v97 :: v_dual_mov_b32 v1, v32
	s_wait_dscnt 0x0
	v_dual_mov_b32 v2, v95 :: v_dual_mov_b32 v3, v34
	v_mov_b32_e32 v4, v85
	v_dual_mov_b32 v6, v87 :: v_dual_mov_b32 v85, v131
	v_mov_b32_e32 v87, v133
	v_wmma_f32_16x16x16_bf16 v[51:58], v[76:79], v[12:15], v[51:58]
	v_lshlrev_b32_e32 v31, 7, v100
	v_lshlrev_b32_e32 v32, 12, v99
	;; [unrolled: 1-line block ×3, first 2 shown]
	ds_load_2addr_b32 v[82:83], v88 offset0:117 offset1:149
	ds_load_2addr_b32 v[135:136], v90 offset0:123 offset1:155
	;; [unrolled: 1-line block ×4, first 2 shown]
	v_wmma_f32_16x16x16_bf16 v[51:58], v[84:87], v[0:3], v[51:58]
	ds_load_2addr_b32 v[137:138], v92 offset0:119 offset1:151
	s_wait_dscnt 0x0
	s_barrier_signal -1
	s_barrier_wait -1
	ds_store_2addr_b32 v50, v51, v52 offset1:32
	ds_store_2addr_b32 v50, v53, v54 offset0:64 offset1:96
	ds_store_2addr_b32 v50, v55, v56 offset0:128 offset1:160
	;; [unrolled: 1-line block ×3, first 2 shown]
	v_or3_b32 v51, v31, v32, v34
	s_wait_dscnt 0x0
	s_barrier_signal -1
	s_barrier_wait -1
	v_mov_b32_e32 v36, v25
	ds_load_b128 v[92:95], v51
	s_clause 0x3
	s_load_b32 s7, s[0:1], 0xb0
	s_load_b32 s6, s[0:1], 0xbc
	;; [unrolled: 1-line block ×4, first 2 shown]
	v_mov_b32_e32 v38, v21
	v_mov_b32_e32 v32, v98
	v_dual_mov_b32 v34, v96 :: v_dual_add_nc_u32 v21, s47, v99
	ds_load_b128 v[96:99], v51 offset:16
	v_mov_b32_e32 v42, v27
	v_lshl_or_b32 v115, s46, 7, v23
	v_mov_b32_e32 v40, v29
	v_lshl_or_b32 v117, v21, 6, v100
	v_mov_b32_e32 v46, v49
	v_mov_b32_e32 v44, v59
	v_wmma_f32_16x16x16_bf16 v[52:59], v[60:63], v[36:39], 0
	s_mov_b32 s47, s43
	v_dual_mov_b32 v101, v80 :: v_dual_mov_b32 v80, v130
	s_delay_alu instid0(VALU_DEP_2)
	v_wmma_f32_16x16x16_bf16 v[52:59], v[68:71], v[40:43], v[52:59]
	s_wait_kmcnt 0x0
	v_cmp_gt_i32_e64 s1, s6, v117
	s_wait_dscnt 0x1
	v_bfe_u32 v25, v92, 16, 1
	v_bfe_u32 v27, v93, 16, 1
	v_or_b32_e32 v23, 0x400000, v92
	v_cmp_u_f32_e32 vcc_lo, v92, v92
	v_bfe_u32 v29, v94, 16, 1
	v_add3_u32 v21, v25, v92, 0x7fff
	v_add3_u32 v25, v27, v93, 0x7fff
	v_or_b32_e32 v27, 0x400000, v93
	v_or_b32_e32 v31, 0x400000, v95
	s_wait_dscnt 0x0
	v_bfe_u32 v48, v96, 16, 1
	s_wait_alu 0xfffd
	v_cndmask_b32_e32 v21, v21, v23, vcc_lo
	v_cmp_u_f32_e32 vcc_lo, v93, v93
	v_bfe_u32 v23, v95, 16, 1
	v_or_b32_e32 v49, 0x400000, v98
	v_bfe_u32 v92, v99, 16, 1
	v_bfe_u32 v93, v97, 16, 1
	s_wait_alu 0xfffd
	v_cndmask_b32_e32 v25, v25, v27, vcc_lo
	v_add3_u32 v27, v29, v94, 0x7fff
	v_or_b32_e32 v29, 0x400000, v94
	v_cmp_u_f32_e32 vcc_lo, v94, v94
	v_add3_u32 v23, v23, v95, 0x7fff
	v_add3_u32 v92, v92, v99, 0x7fff
	v_or_b32_e32 v94, 0x400000, v99
	v_cmp_u_f32_e64 s0, v97, v97
	s_wait_alu 0xfffd
	v_cndmask_b32_e32 v27, v27, v29, vcc_lo
	v_cmp_u_f32_e32 vcc_lo, v95, v95
	v_bfe_u32 v29, v98, 16, 1
	v_wmma_f32_16x16x16_bf16 v[52:59], v[76:79], v[44:47], v[52:59]
	s_lshl_b32 s46, s2, 1
	s_wait_alu 0xfffd
	v_dual_mov_b32 v100, v129 :: v_dual_cndmask_b32 v23, v23, v31
	v_add3_u32 v31, v48, v96, 0x7fff
	v_or_b32_e32 v48, 0x400000, v96
	v_cmp_u_f32_e32 vcc_lo, v96, v96
	v_add3_u32 v29, v29, v98, 0x7fff
	v_wmma_f32_16x16x16_bf16 v[52:59], v[84:87], v[32:35], v[52:59]
	v_dual_mov_b32 v102, v127 :: v_dual_mov_b32 v103, v82
	s_wait_alu 0xfffd
	v_cndmask_b32_e32 v31, v31, v48, vcc_lo
	v_cmp_u_f32_e32 vcc_lo, v98, v98
	v_mov_b32_e32 v98, v119
	v_dual_mov_b32 v104, v137 :: v_dual_mov_b32 v105, v88
	s_wait_alu 0xfffd
	v_dual_mov_b32 v106, v135 :: v_dual_cndmask_b32 v29, v29, v49
	v_cmp_u_f32_e32 vcc_lo, v99, v99
	v_mad_co_u64_u32 v[48:49], null, v117, s7, v[115:116]
	v_add3_u32 v49, v93, v97, 0x7fff
	v_or_b32_e32 v93, 0x400000, v97
	s_wait_alu 0xfffd
	v_cndmask_b32_e32 v92, v92, v94, vcc_lo
	v_cmp_gt_i32_e32 vcc_lo, s8, v115
	v_dual_mov_b32 v97, v72 :: v_dual_mov_b32 v72, v122
	v_lshlrev_b32_e32 v123, 1, v48
	v_cndmask_b32_e64 v49, v49, v93, s0
	s_and_b32 s0, vcc_lo, s1
	v_perm_b32 v95, v92, v29, 0x7060302
	s_wait_alu 0xfffe
	v_cndmask_b32_e64 v96, 0x80000000, 0, s0
	v_perm_b32 v93, v23, v27, 0x7060302
	v_perm_b32 v94, v49, v31, 0x7060302
	;; [unrolled: 1-line block ×3, first 2 shown]
	v_mov_b32_e32 v99, v74
	v_dual_mov_b32 v96, v121 :: v_dual_add_nc_u32 v21, v96, v123
	v_dual_mov_b32 v74, v120 :: v_dual_mov_b32 v107, v90
	v_mov_b32_e32 v88, v138
	buffer_store_b128 v[92:95], v21, s[44:47], null offen
	s_wait_dscnt 0x0
	s_barrier_signal -1
	s_barrier_wait -1
	ds_store_2addr_b32 v50, v52, v53 offset1:32
	ds_store_2addr_b32 v50, v54, v55 offset0:64 offset1:96
	ds_store_2addr_b32 v50, v56, v57 offset0:128 offset1:160
	;; [unrolled: 1-line block ×3, first 2 shown]
	s_wait_dscnt 0x0
	s_barrier_signal -1
	s_barrier_wait -1
	ds_load_b128 v[52:55], v51
	ds_load_b128 v[56:59], v51 offset:16
	v_dual_mov_b32 v92, v113 :: v_dual_mov_b32 v93, v64
	v_dual_mov_b32 v94, v111 :: v_dual_mov_b32 v95, v66
	v_mov_b32_e32 v64, v114
	v_mov_b32_e32 v66, v112
	;; [unrolled: 1-line block ×3, first 2 shown]
	s_wait_dscnt 0x1
	v_bfe_u32 v21, v52, 16, 1
	v_bfe_u32 v23, v53, 16, 1
	v_or_b32_e32 v25, 0x400000, v52
	v_cmp_u_f32_e64 s0, v52, v52
	v_or_b32_e32 v27, 0x400000, v53
	v_add3_u32 v21, v21, v52, 0x7fff
	v_add3_u32 v23, v23, v53, 0x7fff
	v_bfe_u32 v29, v54, 16, 1
	s_wait_dscnt 0x0
	v_bfe_u32 v31, v57, 16, 1
	v_or_b32_e32 v49, 0x400000, v56
	s_wait_alu 0xf1ff
	v_cndmask_b32_e64 v21, v21, v25, s0
	v_bfe_u32 v25, v56, 16, 1
	v_cmp_u_f32_e64 s0, v53, v53
	v_cmp_u_f32_e64 s5, v54, v54
	v_add3_u32 v31, v31, v57, 0x7fff
	v_or_b32_e32 v53, 0x400000, v57
	v_add3_u32 v25, v25, v56, 0x7fff
	s_wait_alu 0xf1ff
	v_cndmask_b32_e64 v23, v23, v27, s0
	v_add3_u32 v27, v29, v54, 0x7fff
	v_or_b32_e32 v29, 0x400000, v54
	v_cmp_u_f32_e64 s0, v56, v56
	v_cmp_u_f32_e64 s2, v57, v57
	v_bfe_u32 v52, v58, 16, 1
	v_bfe_u32 v56, v59, 16, 1
	v_cndmask_b32_e64 v27, v27, v29, s5
	v_bfe_u32 v29, v55, 16, 1
	s_wait_alu 0xf1ff
	v_cndmask_b32_e64 v25, v25, v49, s0
	v_or_b32_e32 v49, 32, v115
	v_cndmask_b32_e64 v31, v31, v53, s2
	v_or_b32_e32 v53, 0x400000, v55
	v_add3_u32 v29, v29, v55, 0x7fff
	v_cmp_u_f32_e64 s2, v55, v55
	v_cmp_gt_i32_e64 s0, s8, v49
	v_add3_u32 v52, v52, v58, 0x7fff
	v_or_b32_e32 v57, 0x400000, v58
	v_cmp_u_f32_e64 s3, v58, v58
	v_add3_u32 v56, v56, v59, 0x7fff
	v_or_b32_e32 v58, 0x400000, v59
	v_cmp_u_f32_e64 s4, v59, v59
	s_wait_alu 0xf1ff
	v_cndmask_b32_e64 v29, v29, v53, s2
	s_and_b32 s2, s1, s0
	v_cndmask_b32_e64 v49, v52, v57, s3
	v_perm_b32 v54, v31, v25, 0x7060302
	v_cndmask_b32_e64 v52, v56, v58, s4
	s_wait_alu 0xfffe
	v_cndmask_b32_e64 v56, 0x80000000, 0, s2
	v_perm_b32 v53, v29, v27, 0x7060302
	v_or_b32_e32 v27, 64, v115
	s_lshl_b32 s5, s7, 5
	v_perm_b32 v55, v52, v49, 0x7060302
	v_perm_b32 v52, v23, v21, 0x7060302
	v_add_nc_u32_e32 v21, v123, v56
	buffer_store_b128 v[52:55], v21, s[44:47], null offen offset:64
	v_wmma_f32_16x16x16_bf16 v[52:59], v[60:63], v[92:95], 0
	s_wait_dscnt 0x0
	s_barrier_signal -1
	s_barrier_wait -1
	s_delay_alu instid0(VALU_DEP_1) | instskip(NEXT) | instid1(VALU_DEP_1)
	v_wmma_f32_16x16x16_bf16 v[52:59], v[68:71], v[96:99], v[52:59]
	v_wmma_f32_16x16x16_bf16 v[52:59], v[76:79], v[100:103], v[52:59]
	s_delay_alu instid0(VALU_DEP_1)
	v_wmma_f32_16x16x16_bf16 v[52:59], v[84:87], v[104:107], v[52:59]
	ds_store_2addr_b32 v50, v52, v53 offset1:32
	ds_store_2addr_b32 v50, v54, v55 offset0:64 offset1:96
	ds_store_2addr_b32 v50, v56, v57 offset0:128 offset1:160
	;; [unrolled: 1-line block ×3, first 2 shown]
	s_wait_dscnt 0x0
	s_barrier_signal -1
	s_barrier_wait -1
	ds_load_b128 v[108:111], v51
	v_wmma_f32_16x16x16_bf16 v[52:59], v[60:63], v[64:67], 0
	ds_load_b128 v[60:63], v51 offset:16
	v_wmma_f32_16x16x16_bf16 v[52:59], v[68:71], v[72:75], v[52:59]
	s_wait_dscnt 0x1
	v_bfe_u32 v21, v108, 16, 1
	v_or_b32_e32 v23, 0x400000, v108
	v_bfe_u32 v25, v109, 16, 1
	v_cmp_u_f32_e64 s2, v108, v108
	v_bfe_u32 v29, v110, 16, 1
	v_add3_u32 v21, v21, v108, 0x7fff
	v_or_b32_e32 v31, 0x400000, v110
	v_bfe_u32 v49, v111, 16, 1
	s_wait_dscnt 0x0
	v_bfe_u32 v68, v60, 16, 1
	v_add3_u32 v29, v29, v110, 0x7fff
	s_wait_alu 0xf1ff
	v_cndmask_b32_e64 v21, v21, v23, s2
	v_add3_u32 v23, v25, v109, 0x7fff
	v_or_b32_e32 v25, 0x400000, v109
	v_cmp_u_f32_e64 s2, v109, v109
	v_bfe_u32 v70, v62, 16, 1
	v_or_b32_e32 v71, 0x400000, v62
	v_cmp_u_f32_e64 s3, v63, v63
	v_or_b32_e32 v69, 0x400000, v111
	s_wait_alu 0xf1ff
	v_cndmask_b32_e64 v23, v23, v25, s2
	v_cmp_u_f32_e64 s2, v110, v110
	v_add3_u32 v70, v70, v62, 0x7fff
	s_wait_alu 0xf1ff
	s_delay_alu instid0(VALU_DEP_2)
	v_cndmask_b32_e64 v25, v29, v31, s2
	v_add3_u32 v29, v49, v111, 0x7fff
	v_add3_u32 v31, v68, v60, 0x7fff
	v_or_b32_e32 v49, 0x400000, v60
	v_bfe_u32 v68, v61, 16, 1
	v_cmp_u_f32_e64 s2, v60, v60
	v_or_b32_e32 v60, 0x400000, v61
	s_wait_alu 0xf1ff
	s_delay_alu instid0(VALU_DEP_2)
	v_cndmask_b32_e64 v31, v31, v49, s2
	v_add3_u32 v49, v68, v61, 0x7fff
	v_bfe_u32 v68, v63, 16, 1
	v_cmp_u_f32_e64 s2, v61, v61
	v_or_b32_e32 v61, 0x400000, v63
	s_wait_alu 0xf1ff
	s_delay_alu instid0(VALU_DEP_2) | instskip(SKIP_3) | instid1(VALU_DEP_1)
	v_cndmask_b32_e64 v49, v49, v60, s2
	v_add3_u32 v60, v68, v63, 0x7fff
	v_cmp_u_f32_e64 s2, v62, v62
	s_wait_alu 0xf1ff
	v_cndmask_b32_e64 v62, v70, v71, s2
	v_cmp_gt_i32_e64 s2, s8, v27
	v_cndmask_b32_e64 v27, v60, v61, s3
	v_cmp_u_f32_e64 s3, v111, v111
	v_perm_b32 v60, v23, v21, 0x7060302
	v_add_nc_u32_e32 v71, 0x60, v48
	v_mov_b32_e32 v23, v7
	v_perm_b32 v63, v27, v62, 0x7060302
	s_wait_alu 0xf1ff
	v_cndmask_b32_e64 v29, v29, v69, s3
	s_and_b32 s3, s1, s2
	v_perm_b32 v62, v49, v31, 0x7060302
	s_wait_alu 0xfffe
	v_cndmask_b32_e64 v68, 0x80000000, 0, s3
	v_mov_b32_e32 v82, v128
	v_perm_b32 v61, v29, v25, 0x7060302
	v_mov_b32_e32 v29, v116
	v_mov_b32_e32 v31, v118
	v_add_nc_u32_e32 v21, v123, v68
	v_wmma_f32_16x16x16_bf16 v[52:59], v[76:79], v[80:83], v[52:59]
	v_or_b32_e32 v68, 0x60, v115
	v_mov_b32_e32 v25, v124
	v_mov_b32_e32 v27, v126
	buffer_store_b128 v[60:63], v21, s[44:47], null offen offset:128
	v_wmma_f32_16x16x16_bf16 v[52:59], v[84:87], v[88:91], v[52:59]
	s_wait_dscnt 0x0
	s_barrier_signal -1
	s_barrier_wait -1
	ds_store_2addr_b32 v50, v52, v53 offset1:32
	ds_store_2addr_b32 v50, v54, v55 offset0:64 offset1:96
	ds_store_2addr_b32 v50, v56, v57 offset0:128 offset1:160
	;; [unrolled: 1-line block ×3, first 2 shown]
	s_wait_dscnt 0x0
	s_barrier_signal -1
	s_barrier_wait -1
	ds_load_b128 v[60:63], v51
	v_mov_b32_e32 v21, v5
	v_mov_b32_e32 v5, v132
	;; [unrolled: 1-line block ×3, first 2 shown]
	s_delay_alu instid0(VALU_DEP_3) | instskip(SKIP_2) | instid1(VALU_DEP_1)
	v_wmma_f32_16x16x16_bf16 v[52:59], v[20:23], v[64:67], 0
	ds_load_b128 v[64:67], v51 offset:16
	v_wmma_f32_16x16x16_bf16 v[52:59], v[28:31], v[72:75], v[52:59]
	v_wmma_f32_16x16x16_bf16 v[52:59], v[24:27], v[80:83], v[52:59]
	s_wait_dscnt 0x1
	v_bfe_u32 v49, v60, 16, 1
	v_or_b32_e32 v69, 0x400000, v60
	v_bfe_u32 v70, v61, 16, 1
	v_cmp_u_f32_e64 s3, v60, v60
	v_bfe_u32 v72, v62, 16, 1
	v_add3_u32 v49, v49, v60, 0x7fff
	v_bfe_u32 v73, v63, 16, 1
	v_add3_u32 v60, v70, v61, 0x7fff
	s_wait_dscnt 0x0
	v_bfe_u32 v74, v64, 16, 1
	v_add3_u32 v70, v72, v62, 0x7fff
	s_wait_alu 0xf1ff
	v_cndmask_b32_e64 v49, v49, v69, s3
	v_or_b32_e32 v69, 0x400000, v61
	v_cmp_u_f32_e64 s3, v61, v61
	v_or_b32_e32 v72, 0x400000, v62
	v_or_b32_e32 v75, 0x400000, v66
	v_cmp_u_f32_e64 s4, v67, v67
	v_wmma_f32_16x16x16_bf16 v[52:59], v[4:7], v[88:91], v[52:59]
	s_wait_alu 0xf1ff
	v_cndmask_b32_e64 v60, v60, v69, s3
	v_cmp_u_f32_e64 s3, v62, v62
	v_add3_u32 v69, v74, v64, 0x7fff
	v_bfe_u32 v74, v66, 16, 1
	v_add3_u32 v62, v73, v63, 0x7fff
	v_or_b32_e32 v73, 0x400000, v63
	s_wait_alu 0xf1ff
	v_cndmask_b32_e64 v61, v70, v72, s3
	v_or_b32_e32 v70, 0x400000, v64
	v_bfe_u32 v72, v65, 16, 1
	v_cmp_u_f32_e64 s3, v64, v64
	v_add3_u32 v74, v74, v66, 0x7fff
	v_perm_b32 v60, v60, v49, 0x7060302
	s_wait_alu 0xf1ff
	s_delay_alu instid0(VALU_DEP_3)
	v_cndmask_b32_e64 v64, v69, v70, s3
	v_add3_u32 v69, v72, v65, 0x7fff
	v_or_b32_e32 v70, 0x400000, v65
	v_cmp_u_f32_e64 s3, v65, v65
	v_bfe_u32 v72, v67, 16, 1
	s_wait_alu 0xf1ff
	s_delay_alu instid0(VALU_DEP_2) | instskip(SKIP_1) | instid1(VALU_DEP_3)
	v_cndmask_b32_e64 v65, v69, v70, s3
	v_cmp_u_f32_e64 s3, v66, v66
	v_add3_u32 v69, v72, v67, 0x7fff
	v_or_b32_e32 v70, 0x400000, v67
	s_wait_alu 0xf1ff
	s_delay_alu instid0(VALU_DEP_3) | instskip(SKIP_1) | instid1(VALU_DEP_3)
	v_cndmask_b32_e64 v66, v74, v75, s3
	v_cmp_gt_i32_e64 s3, s8, v68
	v_cndmask_b32_e64 v67, v69, v70, s4
	v_cmp_u_f32_e64 s4, v63, v63
	s_and_b32 s1, s1, s3
	v_perm_b32 v63, v67, v66, 0x7060302
	v_cndmask_b32_e64 v68, v62, v73, s4
	s_wait_alu 0xfffe
	v_cndmask_b32_e64 v69, 0x80000000, 0, s1
	v_perm_b32 v62, v65, v64, 0x7060302
	s_delay_alu instid0(VALU_DEP_3) | instskip(NEXT) | instid1(VALU_DEP_3)
	v_perm_b32 v61, v68, v61, 0x7060302
	v_lshl_add_u32 v49, v71, 1, v69
	v_or_b32_e32 v69, 32, v117
	buffer_store_b128 v[60:63], v49, s[44:47], null offen
	s_wait_dscnt 0x0
	s_barrier_signal -1
	s_barrier_wait -1
	ds_store_2addr_b32 v50, v52, v53 offset1:32
	ds_store_2addr_b32 v50, v54, v55 offset0:64 offset1:96
	ds_store_2addr_b32 v50, v56, v57 offset0:128 offset1:160
	ds_store_2addr_b32 v50, v58, v59 offset0:192 offset1:224
	s_wait_dscnt 0x0
	s_barrier_signal -1
	s_barrier_wait -1
	ds_load_b128 v[60:63], v51
	ds_load_b128 v[64:67], v51 offset:16
	v_wmma_f32_16x16x16_bf16 v[52:59], v[20:23], v[92:95], 0
	s_delay_alu instid0(VALU_DEP_1) | instskip(NEXT) | instid1(VALU_DEP_1)
	v_wmma_f32_16x16x16_bf16 v[52:59], v[28:31], v[96:99], v[52:59]
	v_wmma_f32_16x16x16_bf16 v[52:59], v[24:27], v[100:103], v[52:59]
	s_delay_alu instid0(VALU_DEP_1)
	v_wmma_f32_16x16x16_bf16 v[52:59], v[4:7], v[104:107], v[52:59]
	s_wait_dscnt 0x1
	v_bfe_u32 v49, v60, 16, 1
	v_bfe_u32 v68, v61, 16, 1
	v_or_b32_e32 v70, 0x400000, v60
	v_cmp_u_f32_e64 s1, v60, v60
	v_or_b32_e32 v72, 0x400000, v61
	v_add3_u32 v49, v49, v60, 0x7fff
	v_add3_u32 v68, v68, v61, 0x7fff
	v_bfe_u32 v73, v62, 16, 1
	v_bfe_u32 v60, v63, 16, 1
	s_wait_dscnt 0x0
	v_or_b32_e32 v74, 0x400000, v67
	s_wait_alu 0xf1ff
	v_cndmask_b32_e64 v49, v49, v70, s1
	v_cmp_u_f32_e64 s1, v61, v61
	v_add3_u32 v61, v73, v62, 0x7fff
	v_or_b32_e32 v70, 0x400000, v62
	v_add3_u32 v60, v60, v63, 0x7fff
	v_or_b32_e32 v73, 0x400000, v63
	s_wait_alu 0xf1ff
	v_cndmask_b32_e64 v68, v68, v72, s1
	v_cmp_u_f32_e64 s1, v62, v62
	v_bfe_u32 v72, v64, 16, 1
	v_cmp_u_f32_e64 s4, v67, v67
	s_wait_alu 0xf1ff
	s_delay_alu instid0(VALU_DEP_3)
	v_cndmask_b32_e64 v61, v61, v70, s1
	v_cmp_u_f32_e64 s1, v63, v63
	v_add3_u32 v62, v72, v64, 0x7fff
	v_or_b32_e32 v70, 0x400000, v64
	v_bfe_u32 v72, v66, 16, 1
	v_bfe_u32 v63, v65, 16, 1
	s_wait_alu 0xf1ff
	v_cndmask_b32_e64 v60, v60, v73, s1
	v_cmp_u_f32_e64 s1, v64, v64
	v_bfe_u32 v64, v67, 16, 1
	v_or_b32_e32 v73, 0x400000, v65
	v_add3_u32 v63, v63, v65, 0x7fff
	v_perm_b32 v61, v60, v61, 0x7060302
	s_wait_alu 0xf1ff
	v_cndmask_b32_e64 v62, v62, v70, s1
	v_add3_u32 v70, v72, v66, 0x7fff
	v_or_b32_e32 v72, 0x400000, v66
	v_cmp_u_f32_e64 s1, v66, v66
	v_add3_u32 v64, v64, v67, 0x7fff
	v_perm_b32 v60, v68, v49, 0x7060302
	s_wait_alu 0xf1ff
	s_delay_alu instid0(VALU_DEP_3)
	v_cndmask_b32_e64 v66, v70, v72, s1
	v_cmp_gt_i32_e64 s1, s6, v69
	v_cndmask_b32_e64 v64, v64, v74, s4
	v_cmp_u_f32_e64 s4, v65, v65
	v_add_lshl_u32 v69, v71, s5, 1
	s_and_b32 s3, s3, s1
	s_and_b32 s2, s2, s1
	v_cndmask_b32_e64 v65, v63, v73, s4
	s_wait_alu 0xfffe
	v_cndmask_b32_e64 v67, 0x80000000, 0, s3
	v_perm_b32 v63, v64, v66, 0x7060302
	s_and_b32 s0, s0, s1
	v_perm_b32 v62, v65, v62, 0x7060302
	s_delay_alu instid0(VALU_DEP_3)
	v_add_nc_u32_e32 v49, v69, v67
	buffer_store_b128 v[60:63], v49, s[44:47], null offen
	s_wait_dscnt 0x0
	s_barrier_signal -1
	s_barrier_wait -1
	ds_store_2addr_b32 v50, v52, v53 offset1:32
	ds_store_2addr_b32 v50, v54, v55 offset0:64 offset1:96
	ds_store_2addr_b32 v50, v56, v57 offset0:128 offset1:160
	;; [unrolled: 1-line block ×3, first 2 shown]
	s_wait_dscnt 0x0
	s_barrier_signal -1
	s_barrier_wait -1
	ds_load_b128 v[60:63], v51
	ds_load_b128 v[64:67], v51 offset:16
	v_wmma_f32_16x16x16_bf16 v[52:59], v[20:23], v[36:39], 0
	s_delay_alu instid0(VALU_DEP_1) | instskip(NEXT) | instid1(VALU_DEP_1)
	v_wmma_f32_16x16x16_bf16 v[52:59], v[28:31], v[40:43], v[52:59]
	v_wmma_f32_16x16x16_bf16 v[52:59], v[24:27], v[44:47], v[52:59]
	s_delay_alu instid0(VALU_DEP_1)
	v_wmma_f32_16x16x16_bf16 v[52:59], v[4:7], v[32:35], v[52:59]
	s_wait_dscnt 0x1
	v_bfe_u32 v36, v60, 16, 1
	v_or_b32_e32 v37, 0x400000, v60
	v_bfe_u32 v38, v61, 16, 1
	v_cmp_u_f32_e64 s3, v60, v60
	v_bfe_u32 v39, v62, 16, 1
	v_add3_u32 v36, v36, v60, 0x7fff
	v_or_b32_e32 v40, 0x400000, v62
	v_bfe_u32 v41, v63, 16, 1
	s_wait_dscnt 0x0
	v_bfe_u32 v42, v64, 16, 1
	v_add3_u32 v39, v39, v62, 0x7fff
	s_wait_alu 0xf1ff
	v_cndmask_b32_e64 v36, v36, v37, s3
	v_add3_u32 v37, v38, v61, 0x7fff
	v_or_b32_e32 v38, 0x400000, v61
	v_cmp_u_f32_e64 s3, v61, v61
	v_bfe_u32 v44, v66, 16, 1
	v_bfe_u32 v45, v67, 16, 1
	v_or_b32_e32 v46, 0x400000, v66
	s_wait_alu 0xf1ff
	v_cndmask_b32_e64 v43, v37, v38, s3
	v_cmp_u_f32_e64 s3, v62, v62
	v_add3_u32 v38, v41, v63, 0x7fff
	v_bfe_u32 v41, v65, 16, 1
	v_add3_u32 v44, v44, v66, 0x7fff
	v_perm_b32 v36, v43, v36, 0x7060302
	s_wait_alu 0xf1ff
	v_cndmask_b32_e64 v37, v39, v40, s3
	v_add3_u32 v39, v42, v64, 0x7fff
	v_or_b32_e32 v40, 0x400000, v64
	v_cmp_u_f32_e64 s3, v64, v64
	v_or_b32_e32 v42, 0x400000, v63
	s_wait_alu 0xf1ff
	s_delay_alu instid0(VALU_DEP_2) | instskip(SKIP_4) | instid1(VALU_DEP_1)
	v_cndmask_b32_e64 v40, v39, v40, s3
	v_add3_u32 v39, v41, v65, 0x7fff
	v_or_b32_e32 v41, 0x400000, v65
	v_cmp_u_f32_e64 s3, v65, v65
	s_wait_alu 0xf1ff
	v_cndmask_b32_e64 v41, v39, v41, s3
	v_cmp_u_f32_e64 s3, v66, v66
	v_add3_u32 v39, v45, v67, 0x7fff
	v_or_b32_e32 v45, 0x400000, v67
	s_wait_alu 0xf1ff
	s_delay_alu instid0(VALU_DEP_3) | instskip(SKIP_3) | instid1(VALU_DEP_2)
	v_cndmask_b32_e64 v44, v44, v46, s3
	v_cmp_u_f32_e64 s3, v67, v67
	v_not_b32_e32 v46, 63
	s_wait_alu 0xf1ff
	v_cndmask_b32_e64 v39, v39, v45, s3
	v_cmp_u_f32_e64 s3, v63, v63
	s_delay_alu instid0(VALU_DEP_3) | instskip(NEXT) | instid1(VALU_DEP_3)
	v_cndmask_b32_e64 v45, 0x7fffffc0, v46, s2
	v_perm_b32 v39, v39, v44, 0x7060302
	s_wait_alu 0xf1ff
	s_delay_alu instid0(VALU_DEP_3) | instskip(SKIP_2) | instid1(VALU_DEP_3)
	v_cndmask_b32_e64 v42, v38, v42, s3
	v_perm_b32 v38, v41, v40, 0x7060302
	v_add_nc_u32_e32 v40, v45, v69
	v_perm_b32 v37, v42, v37, 0x7060302
	buffer_store_b128 v[36:39], v40, s[44:47], null offen
	s_wait_dscnt 0x0
	s_barrier_signal -1
	s_barrier_wait -1
	ds_store_2addr_b32 v50, v52, v53 offset1:32
	ds_store_2addr_b32 v50, v54, v55 offset0:64 offset1:96
	ds_store_2addr_b32 v50, v56, v57 offset0:128 offset1:160
	ds_store_2addr_b32 v50, v58, v59 offset0:192 offset1:224
	s_wait_dscnt 0x0
	s_barrier_signal -1
	s_barrier_wait -1
	ds_load_b128 v[40:43], v51
	ds_load_b128 v[44:47], v51 offset:16
	v_wmma_f32_16x16x16_bf16 v[32:39], v[20:23], v[8:11], 0
	s_delay_alu instid0(VALU_DEP_1) | instskip(NEXT) | instid1(VALU_DEP_1)
	v_wmma_f32_16x16x16_bf16 v[32:39], v[28:31], v[16:19], v[32:39]
	v_wmma_f32_16x16x16_bf16 v[32:39], v[24:27], v[12:15], v[32:39]
	s_delay_alu instid0(VALU_DEP_1)
	v_wmma_f32_16x16x16_bf16 v[32:39], v[4:7], v[0:3], v[32:39]
	s_wait_dscnt 0x1
	v_bfe_u32 v8, v40, 16, 1
	v_or_b32_e32 v9, 0x400000, v40
	v_bfe_u32 v10, v41, 16, 1
	v_cmp_u_f32_e64 s2, v40, v40
	v_bfe_u32 v11, v42, 16, 1
	v_add3_u32 v8, v8, v40, 0x7fff
	v_or_b32_e32 v12, 0x400000, v42
	v_bfe_u32 v13, v43, 16, 1
	s_wait_dscnt 0x0
	v_bfe_u32 v14, v44, 16, 1
	v_add3_u32 v11, v11, v42, 0x7fff
	s_wait_alu 0xf1ff
	v_cndmask_b32_e64 v8, v8, v9, s2
	v_add3_u32 v9, v10, v41, 0x7fff
	v_or_b32_e32 v10, 0x400000, v41
	v_cmp_u_f32_e64 s2, v41, v41
	v_bfe_u32 v16, v46, 16, 1
	v_bfe_u32 v17, v47, 16, 1
	v_or_b32_e32 v18, 0x400000, v46
	s_wait_alu 0xf1ff
	v_cndmask_b32_e64 v15, v9, v10, s2
	v_cmp_u_f32_e64 s2, v42, v42
	v_add3_u32 v10, v13, v43, 0x7fff
	v_bfe_u32 v13, v45, 16, 1
	v_add3_u32 v16, v16, v46, 0x7fff
	v_perm_b32 v8, v15, v8, 0x7060302
	s_wait_alu 0xf1ff
	v_cndmask_b32_e64 v9, v11, v12, s2
	v_add3_u32 v11, v14, v44, 0x7fff
	v_or_b32_e32 v12, 0x400000, v44
	v_cmp_u_f32_e64 s2, v44, v44
	v_or_b32_e32 v14, 0x400000, v43
	s_wait_alu 0xf1ff
	s_delay_alu instid0(VALU_DEP_2) | instskip(SKIP_4) | instid1(VALU_DEP_1)
	v_cndmask_b32_e64 v12, v11, v12, s2
	v_add3_u32 v11, v13, v45, 0x7fff
	v_or_b32_e32 v13, 0x400000, v45
	v_cmp_u_f32_e64 s2, v45, v45
	s_wait_alu 0xf1ff
	v_cndmask_b32_e64 v13, v11, v13, s2
	v_cmp_u_f32_e64 s2, v46, v46
	v_add3_u32 v11, v17, v47, 0x7fff
	v_or_b32_e32 v17, 0x400000, v47
	s_wait_alu 0xf1ff
	s_delay_alu instid0(VALU_DEP_3) | instskip(SKIP_3) | instid1(VALU_DEP_2)
	v_cndmask_b32_e64 v16, v16, v18, s2
	v_cmp_u_f32_e64 s2, v47, v47
	v_mov_b32_e32 v18, 0xffffff80
	s_wait_alu 0xf1ff
	v_cndmask_b32_e64 v11, v11, v17, s2
	v_cmp_u_f32_e64 s2, v43, v43
	s_delay_alu instid0(VALU_DEP_3) | instskip(NEXT) | instid1(VALU_DEP_3)
	v_cndmask_b32_e64 v17, 0x7fffff80, v18, s0
	v_perm_b32 v11, v11, v16, 0x7060302
	s_wait_alu 0xf1ff
	s_delay_alu instid0(VALU_DEP_3) | instskip(SKIP_2) | instid1(VALU_DEP_3)
	v_cndmask_b32_e64 v14, v10, v14, s2
	v_perm_b32 v10, v13, v12, 0x7060302
	v_add_nc_u32_e32 v12, v17, v69
	v_perm_b32 v9, v14, v9, 0x7060302
	buffer_store_b128 v[8:11], v12, s[44:47], null offen
	s_wait_dscnt 0x0
	s_barrier_signal -1
	s_barrier_wait -1
	ds_store_2addr_b32 v50, v32, v33 offset1:32
	ds_store_2addr_b32 v50, v34, v35 offset0:64 offset1:96
	ds_store_2addr_b32 v50, v36, v37 offset0:128 offset1:160
	;; [unrolled: 1-line block ×3, first 2 shown]
	s_wait_dscnt 0x0
	s_barrier_signal -1
	s_barrier_wait -1
	ds_load_b128 v[0:3], v51
	ds_load_b128 v[4:7], v51 offset:16
	v_add_nc_u32_e32 v11, s5, v48
	s_wait_dscnt 0x1
	v_bfe_u32 v8, v0, 16, 1
	v_or_b32_e32 v9, 0x400000, v0
	v_bfe_u32 v10, v1, 16, 1
	v_cmp_u_f32_e64 s0, v0, v0
	v_bfe_u32 v12, v2, 16, 1
	v_add3_u32 v8, v8, v0, 0x7fff
	v_bfe_u32 v13, v3, 16, 1
	s_wait_dscnt 0x0
	v_bfe_u32 v14, v4, 16, 1
	v_or_b32_e32 v15, 0x400000, v6
	v_or_b32_e32 v16, 0x400000, v7
	s_wait_alu 0xf1ff
	v_cndmask_b32_e64 v0, v8, v9, s0
	v_add3_u32 v8, v10, v1, 0x7fff
	v_or_b32_e32 v9, 0x400000, v1
	v_cmp_u_f32_e64 s0, v1, v1
	v_add3_u32 v10, v12, v2, 0x7fff
	v_or_b32_e32 v12, 0x400000, v2
	s_wait_alu 0xf1ff
	s_delay_alu instid0(VALU_DEP_3)
	v_cndmask_b32_e64 v8, v8, v9, s0
	v_cmp_u_f32_e64 s0, v2, v2
	v_add3_u32 v2, v13, v3, 0x7fff
	v_add3_u32 v9, v14, v4, 0x7fff
	v_bfe_u32 v13, v5, 16, 1
	v_bfe_u32 v14, v6, 16, 1
	s_wait_alu 0xf1ff
	v_cndmask_b32_e64 v1, v10, v12, s0
	v_or_b32_e32 v10, 0x400000, v4
	v_cmp_u_f32_e64 s0, v4, v4
	v_or_b32_e32 v12, 0x400000, v3
	v_add3_u32 v14, v14, v6, 0x7fff
	v_perm_b32 v0, v8, v0, 0x7060302
	s_wait_alu 0xf1ff
	v_cndmask_b32_e64 v4, v9, v10, s0
	v_add3_u32 v10, v13, v5, 0x7fff
	v_or_b32_e32 v13, 0x400000, v5
	v_cmp_u_f32_e64 s0, v5, v5
	v_bfe_u32 v9, v7, 16, 1
	s_wait_alu 0xf1ff
	s_delay_alu instid0(VALU_DEP_2) | instskip(SKIP_1) | instid1(VALU_DEP_3)
	v_cndmask_b32_e64 v5, v10, v13, s0
	v_cmp_u_f32_e64 s0, v6, v6
	v_add3_u32 v9, v9, v7, 0x7fff
	s_wait_alu 0xf1ff
	s_delay_alu instid0(VALU_DEP_2) | instskip(SKIP_2) | instid1(VALU_DEP_1)
	v_cndmask_b32_e64 v6, v14, v15, s0
	v_cmp_u_f32_e64 s0, v7, v7
	s_wait_alu 0xf1ff
	v_cndmask_b32_e64 v7, v9, v16, s0
	v_cmp_u_f32_e64 s0, v3, v3
	s_delay_alu instid0(VALU_DEP_2) | instskip(SKIP_1) | instid1(VALU_DEP_2)
	v_perm_b32 v3, v7, v6, 0x7060302
	s_wait_alu 0xf1ff
	v_cndmask_b32_e64 v9, v2, v12, s0
	s_and_b32 s0, vcc_lo, s1
	v_perm_b32 v2, v5, v4, 0x7060302
	s_wait_alu 0xfffe
	v_cndmask_b32_e64 v10, 0x80000000, 0, s0
	v_perm_b32 v1, v9, v1, 0x7060302
	s_delay_alu instid0(VALU_DEP_2)
	v_lshl_add_u32 v4, v11, 1, v10
	buffer_store_b128 v[0:3], v4, s[44:47], null offen
	s_nop 0
	s_sendmsg sendmsg(MSG_DEALLOC_VGPRS)
	s_endpgm
	.section	.rodata,"a",@progbits
	.p2align	6, 0x0
	.amdhsa_kernel _ZN2ck16kernel_gemm_wmmaINS_17GridwiseGemm_WmmaILi128EDF16bDF16bffDF16bLNS_25InMemoryDataOperationEnumE0ENS_16TensorDescriptorINS_5TupleIJNS_5EmbedINS4_IJiiEEENS4_IJiNS_17integral_constantIiLi1EEEEEELb0EEENS_8RightPadIiiLb0EEESC_NS_7UnMergeINS4_IJiNS7_IiLi2EEEEEELb0EEENS_11PassThroughIiEEEEENS4_IJNS_8SequenceIJLi0EEEENSK_IJLi1EEEENSK_IJLi2EEEENSK_IJLi4EEEENSK_IJLi3EEEEEEENS4_IJNSK_IJLi1ELi2EEEESP_SO_NSK_IJLi5ELi6EEEENSK_IJLi7EEEEEEENSK_IJLi5ELi7ELi6EEEElEESW_NS3_INS4_IJSA_SC_SC_EEENS4_IJSL_SM_SN_EEENS4_IJSR_SP_SO_EEENSK_IJLi3ELi4EEEElEENS_16tensor_operation12element_wise11PassThroughES14_S14_Li64ELi128ELi64ELi16ELi16ELi2ELi2ELi4ENSK_IJLi4ELi32ELi1EEEENSK_IJLi1ELi0ELi2EEEES16_Li2ELi2ELi2ELb0ELb1ELb1ES15_S16_S16_Li2ELi2ELi2ELb0ELb1ELb1ELi1ELi1ENSK_IJLi1ELi32ELi1ELi4EEEELi8ELi1ELNS_13LoopSchedulerE0ELNS_15PipelineVersionE0EEEDF16bDF16bDF16bSW_SW_NS3_INS4_IJSA_SC_SC_NSD_INS4_IJiNS7_IiLi64EEEEEELb0EEENSD_INS4_IJiNS7_IiLi128EEEEEELb0EEEEEENS4_IJSL_SM_SN_SP_SO_EEENS4_IJSR_SP_SO_SS_NSK_IJLi7ELi8EEEEEEENSK_IJLi5ELi6ELi7ELi8EEEElEES14_S14_S14_NS_31BlockToCTileMap_M00_N0_M01AdaptILi64ELi128ES11_iEELb0EEEvPKT0_PKT1_PT2_T3_T4_T5_T6_T7_T8_T9_
		.amdhsa_group_segment_fixed_size 24824
		.amdhsa_private_segment_fixed_size 0
		.amdhsa_kernarg_size 264
		.amdhsa_user_sgpr_count 2
		.amdhsa_user_sgpr_dispatch_ptr 0
		.amdhsa_user_sgpr_queue_ptr 0
		.amdhsa_user_sgpr_kernarg_segment_ptr 1
		.amdhsa_user_sgpr_dispatch_id 0
		.amdhsa_user_sgpr_private_segment_size 0
		.amdhsa_wavefront_size32 1
		.amdhsa_uses_dynamic_stack 0
		.amdhsa_enable_private_segment 0
		.amdhsa_system_sgpr_workgroup_id_x 1
		.amdhsa_system_sgpr_workgroup_id_y 0
		.amdhsa_system_sgpr_workgroup_id_z 0
		.amdhsa_system_sgpr_workgroup_info 0
		.amdhsa_system_vgpr_workitem_id 0
		.amdhsa_next_free_vgpr 139
		.amdhsa_next_free_sgpr 48
		.amdhsa_reserve_vcc 1
		.amdhsa_float_round_mode_32 0
		.amdhsa_float_round_mode_16_64 0
		.amdhsa_float_denorm_mode_32 3
		.amdhsa_float_denorm_mode_16_64 3
		.amdhsa_fp16_overflow 0
		.amdhsa_workgroup_processor_mode 1
		.amdhsa_memory_ordered 1
		.amdhsa_forward_progress 1
		.amdhsa_inst_pref_size 77
		.amdhsa_round_robin_scheduling 0
		.amdhsa_exception_fp_ieee_invalid_op 0
		.amdhsa_exception_fp_denorm_src 0
		.amdhsa_exception_fp_ieee_div_zero 0
		.amdhsa_exception_fp_ieee_overflow 0
		.amdhsa_exception_fp_ieee_underflow 0
		.amdhsa_exception_fp_ieee_inexact 0
		.amdhsa_exception_int_div_zero 0
	.end_amdhsa_kernel
	.section	.text._ZN2ck16kernel_gemm_wmmaINS_17GridwiseGemm_WmmaILi128EDF16bDF16bffDF16bLNS_25InMemoryDataOperationEnumE0ENS_16TensorDescriptorINS_5TupleIJNS_5EmbedINS4_IJiiEEENS4_IJiNS_17integral_constantIiLi1EEEEEELb0EEENS_8RightPadIiiLb0EEESC_NS_7UnMergeINS4_IJiNS7_IiLi2EEEEEELb0EEENS_11PassThroughIiEEEEENS4_IJNS_8SequenceIJLi0EEEENSK_IJLi1EEEENSK_IJLi2EEEENSK_IJLi4EEEENSK_IJLi3EEEEEEENS4_IJNSK_IJLi1ELi2EEEESP_SO_NSK_IJLi5ELi6EEEENSK_IJLi7EEEEEEENSK_IJLi5ELi7ELi6EEEElEESW_NS3_INS4_IJSA_SC_SC_EEENS4_IJSL_SM_SN_EEENS4_IJSR_SP_SO_EEENSK_IJLi3ELi4EEEElEENS_16tensor_operation12element_wise11PassThroughES14_S14_Li64ELi128ELi64ELi16ELi16ELi2ELi2ELi4ENSK_IJLi4ELi32ELi1EEEENSK_IJLi1ELi0ELi2EEEES16_Li2ELi2ELi2ELb0ELb1ELb1ES15_S16_S16_Li2ELi2ELi2ELb0ELb1ELb1ELi1ELi1ENSK_IJLi1ELi32ELi1ELi4EEEELi8ELi1ELNS_13LoopSchedulerE0ELNS_15PipelineVersionE0EEEDF16bDF16bDF16bSW_SW_NS3_INS4_IJSA_SC_SC_NSD_INS4_IJiNS7_IiLi64EEEEEELb0EEENSD_INS4_IJiNS7_IiLi128EEEEEELb0EEEEEENS4_IJSL_SM_SN_SP_SO_EEENS4_IJSR_SP_SO_SS_NSK_IJLi7ELi8EEEEEEENSK_IJLi5ELi6ELi7ELi8EEEElEES14_S14_S14_NS_31BlockToCTileMap_M00_N0_M01AdaptILi64ELi128ES11_iEELb0EEEvPKT0_PKT1_PT2_T3_T4_T5_T6_T7_T8_T9_,"axG",@progbits,_ZN2ck16kernel_gemm_wmmaINS_17GridwiseGemm_WmmaILi128EDF16bDF16bffDF16bLNS_25InMemoryDataOperationEnumE0ENS_16TensorDescriptorINS_5TupleIJNS_5EmbedINS4_IJiiEEENS4_IJiNS_17integral_constantIiLi1EEEEEELb0EEENS_8RightPadIiiLb0EEESC_NS_7UnMergeINS4_IJiNS7_IiLi2EEEEEELb0EEENS_11PassThroughIiEEEEENS4_IJNS_8SequenceIJLi0EEEENSK_IJLi1EEEENSK_IJLi2EEEENSK_IJLi4EEEENSK_IJLi3EEEEEEENS4_IJNSK_IJLi1ELi2EEEESP_SO_NSK_IJLi5ELi6EEEENSK_IJLi7EEEEEEENSK_IJLi5ELi7ELi6EEEElEESW_NS3_INS4_IJSA_SC_SC_EEENS4_IJSL_SM_SN_EEENS4_IJSR_SP_SO_EEENSK_IJLi3ELi4EEEElEENS_16tensor_operation12element_wise11PassThroughES14_S14_Li64ELi128ELi64ELi16ELi16ELi2ELi2ELi4ENSK_IJLi4ELi32ELi1EEEENSK_IJLi1ELi0ELi2EEEES16_Li2ELi2ELi2ELb0ELb1ELb1ES15_S16_S16_Li2ELi2ELi2ELb0ELb1ELb1ELi1ELi1ENSK_IJLi1ELi32ELi1ELi4EEEELi8ELi1ELNS_13LoopSchedulerE0ELNS_15PipelineVersionE0EEEDF16bDF16bDF16bSW_SW_NS3_INS4_IJSA_SC_SC_NSD_INS4_IJiNS7_IiLi64EEEEEELb0EEENSD_INS4_IJiNS7_IiLi128EEEEEELb0EEEEEENS4_IJSL_SM_SN_SP_SO_EEENS4_IJSR_SP_SO_SS_NSK_IJLi7ELi8EEEEEEENSK_IJLi5ELi6ELi7ELi8EEEElEES14_S14_S14_NS_31BlockToCTileMap_M00_N0_M01AdaptILi64ELi128ES11_iEELb0EEEvPKT0_PKT1_PT2_T3_T4_T5_T6_T7_T8_T9_,comdat
.Lfunc_end2:
	.size	_ZN2ck16kernel_gemm_wmmaINS_17GridwiseGemm_WmmaILi128EDF16bDF16bffDF16bLNS_25InMemoryDataOperationEnumE0ENS_16TensorDescriptorINS_5TupleIJNS_5EmbedINS4_IJiiEEENS4_IJiNS_17integral_constantIiLi1EEEEEELb0EEENS_8RightPadIiiLb0EEESC_NS_7UnMergeINS4_IJiNS7_IiLi2EEEEEELb0EEENS_11PassThroughIiEEEEENS4_IJNS_8SequenceIJLi0EEEENSK_IJLi1EEEENSK_IJLi2EEEENSK_IJLi4EEEENSK_IJLi3EEEEEEENS4_IJNSK_IJLi1ELi2EEEESP_SO_NSK_IJLi5ELi6EEEENSK_IJLi7EEEEEEENSK_IJLi5ELi7ELi6EEEElEESW_NS3_INS4_IJSA_SC_SC_EEENS4_IJSL_SM_SN_EEENS4_IJSR_SP_SO_EEENSK_IJLi3ELi4EEEElEENS_16tensor_operation12element_wise11PassThroughES14_S14_Li64ELi128ELi64ELi16ELi16ELi2ELi2ELi4ENSK_IJLi4ELi32ELi1EEEENSK_IJLi1ELi0ELi2EEEES16_Li2ELi2ELi2ELb0ELb1ELb1ES15_S16_S16_Li2ELi2ELi2ELb0ELb1ELb1ELi1ELi1ENSK_IJLi1ELi32ELi1ELi4EEEELi8ELi1ELNS_13LoopSchedulerE0ELNS_15PipelineVersionE0EEEDF16bDF16bDF16bSW_SW_NS3_INS4_IJSA_SC_SC_NSD_INS4_IJiNS7_IiLi64EEEEEELb0EEENSD_INS4_IJiNS7_IiLi128EEEEEELb0EEEEEENS4_IJSL_SM_SN_SP_SO_EEENS4_IJSR_SP_SO_SS_NSK_IJLi7ELi8EEEEEEENSK_IJLi5ELi6ELi7ELi8EEEElEES14_S14_S14_NS_31BlockToCTileMap_M00_N0_M01AdaptILi64ELi128ES11_iEELb0EEEvPKT0_PKT1_PT2_T3_T4_T5_T6_T7_T8_T9_, .Lfunc_end2-_ZN2ck16kernel_gemm_wmmaINS_17GridwiseGemm_WmmaILi128EDF16bDF16bffDF16bLNS_25InMemoryDataOperationEnumE0ENS_16TensorDescriptorINS_5TupleIJNS_5EmbedINS4_IJiiEEENS4_IJiNS_17integral_constantIiLi1EEEEEELb0EEENS_8RightPadIiiLb0EEESC_NS_7UnMergeINS4_IJiNS7_IiLi2EEEEEELb0EEENS_11PassThroughIiEEEEENS4_IJNS_8SequenceIJLi0EEEENSK_IJLi1EEEENSK_IJLi2EEEENSK_IJLi4EEEENSK_IJLi3EEEEEEENS4_IJNSK_IJLi1ELi2EEEESP_SO_NSK_IJLi5ELi6EEEENSK_IJLi7EEEEEEENSK_IJLi5ELi7ELi6EEEElEESW_NS3_INS4_IJSA_SC_SC_EEENS4_IJSL_SM_SN_EEENS4_IJSR_SP_SO_EEENSK_IJLi3ELi4EEEElEENS_16tensor_operation12element_wise11PassThroughES14_S14_Li64ELi128ELi64ELi16ELi16ELi2ELi2ELi4ENSK_IJLi4ELi32ELi1EEEENSK_IJLi1ELi0ELi2EEEES16_Li2ELi2ELi2ELb0ELb1ELb1ES15_S16_S16_Li2ELi2ELi2ELb0ELb1ELb1ELi1ELi1ENSK_IJLi1ELi32ELi1ELi4EEEELi8ELi1ELNS_13LoopSchedulerE0ELNS_15PipelineVersionE0EEEDF16bDF16bDF16bSW_SW_NS3_INS4_IJSA_SC_SC_NSD_INS4_IJiNS7_IiLi64EEEEEELb0EEENSD_INS4_IJiNS7_IiLi128EEEEEELb0EEEEEENS4_IJSL_SM_SN_SP_SO_EEENS4_IJSR_SP_SO_SS_NSK_IJLi7ELi8EEEEEEENSK_IJLi5ELi6ELi7ELi8EEEElEES14_S14_S14_NS_31BlockToCTileMap_M00_N0_M01AdaptILi64ELi128ES11_iEELb0EEEvPKT0_PKT1_PT2_T3_T4_T5_T6_T7_T8_T9_
                                        ; -- End function
	.set _ZN2ck16kernel_gemm_wmmaINS_17GridwiseGemm_WmmaILi128EDF16bDF16bffDF16bLNS_25InMemoryDataOperationEnumE0ENS_16TensorDescriptorINS_5TupleIJNS_5EmbedINS4_IJiiEEENS4_IJiNS_17integral_constantIiLi1EEEEEELb0EEENS_8RightPadIiiLb0EEESC_NS_7UnMergeINS4_IJiNS7_IiLi2EEEEEELb0EEENS_11PassThroughIiEEEEENS4_IJNS_8SequenceIJLi0EEEENSK_IJLi1EEEENSK_IJLi2EEEENSK_IJLi4EEEENSK_IJLi3EEEEEEENS4_IJNSK_IJLi1ELi2EEEESP_SO_NSK_IJLi5ELi6EEEENSK_IJLi7EEEEEEENSK_IJLi5ELi7ELi6EEEElEESW_NS3_INS4_IJSA_SC_SC_EEENS4_IJSL_SM_SN_EEENS4_IJSR_SP_SO_EEENSK_IJLi3ELi4EEEElEENS_16tensor_operation12element_wise11PassThroughES14_S14_Li64ELi128ELi64ELi16ELi16ELi2ELi2ELi4ENSK_IJLi4ELi32ELi1EEEENSK_IJLi1ELi0ELi2EEEES16_Li2ELi2ELi2ELb0ELb1ELb1ES15_S16_S16_Li2ELi2ELi2ELb0ELb1ELb1ELi1ELi1ENSK_IJLi1ELi32ELi1ELi4EEEELi8ELi1ELNS_13LoopSchedulerE0ELNS_15PipelineVersionE0EEEDF16bDF16bDF16bSW_SW_NS3_INS4_IJSA_SC_SC_NSD_INS4_IJiNS7_IiLi64EEEEEELb0EEENSD_INS4_IJiNS7_IiLi128EEEEEELb0EEEEEENS4_IJSL_SM_SN_SP_SO_EEENS4_IJSR_SP_SO_SS_NSK_IJLi7ELi8EEEEEEENSK_IJLi5ELi6ELi7ELi8EEEElEES14_S14_S14_NS_31BlockToCTileMap_M00_N0_M01AdaptILi64ELi128ES11_iEELb0EEEvPKT0_PKT1_PT2_T3_T4_T5_T6_T7_T8_T9_.num_vgpr, 139
	.set _ZN2ck16kernel_gemm_wmmaINS_17GridwiseGemm_WmmaILi128EDF16bDF16bffDF16bLNS_25InMemoryDataOperationEnumE0ENS_16TensorDescriptorINS_5TupleIJNS_5EmbedINS4_IJiiEEENS4_IJiNS_17integral_constantIiLi1EEEEEELb0EEENS_8RightPadIiiLb0EEESC_NS_7UnMergeINS4_IJiNS7_IiLi2EEEEEELb0EEENS_11PassThroughIiEEEEENS4_IJNS_8SequenceIJLi0EEEENSK_IJLi1EEEENSK_IJLi2EEEENSK_IJLi4EEEENSK_IJLi3EEEEEEENS4_IJNSK_IJLi1ELi2EEEESP_SO_NSK_IJLi5ELi6EEEENSK_IJLi7EEEEEEENSK_IJLi5ELi7ELi6EEEElEESW_NS3_INS4_IJSA_SC_SC_EEENS4_IJSL_SM_SN_EEENS4_IJSR_SP_SO_EEENSK_IJLi3ELi4EEEElEENS_16tensor_operation12element_wise11PassThroughES14_S14_Li64ELi128ELi64ELi16ELi16ELi2ELi2ELi4ENSK_IJLi4ELi32ELi1EEEENSK_IJLi1ELi0ELi2EEEES16_Li2ELi2ELi2ELb0ELb1ELb1ES15_S16_S16_Li2ELi2ELi2ELb0ELb1ELb1ELi1ELi1ENSK_IJLi1ELi32ELi1ELi4EEEELi8ELi1ELNS_13LoopSchedulerE0ELNS_15PipelineVersionE0EEEDF16bDF16bDF16bSW_SW_NS3_INS4_IJSA_SC_SC_NSD_INS4_IJiNS7_IiLi64EEEEEELb0EEENSD_INS4_IJiNS7_IiLi128EEEEEELb0EEEEEENS4_IJSL_SM_SN_SP_SO_EEENS4_IJSR_SP_SO_SS_NSK_IJLi7ELi8EEEEEEENSK_IJLi5ELi6ELi7ELi8EEEElEES14_S14_S14_NS_31BlockToCTileMap_M00_N0_M01AdaptILi64ELi128ES11_iEELb0EEEvPKT0_PKT1_PT2_T3_T4_T5_T6_T7_T8_T9_.num_agpr, 0
	.set _ZN2ck16kernel_gemm_wmmaINS_17GridwiseGemm_WmmaILi128EDF16bDF16bffDF16bLNS_25InMemoryDataOperationEnumE0ENS_16TensorDescriptorINS_5TupleIJNS_5EmbedINS4_IJiiEEENS4_IJiNS_17integral_constantIiLi1EEEEEELb0EEENS_8RightPadIiiLb0EEESC_NS_7UnMergeINS4_IJiNS7_IiLi2EEEEEELb0EEENS_11PassThroughIiEEEEENS4_IJNS_8SequenceIJLi0EEEENSK_IJLi1EEEENSK_IJLi2EEEENSK_IJLi4EEEENSK_IJLi3EEEEEEENS4_IJNSK_IJLi1ELi2EEEESP_SO_NSK_IJLi5ELi6EEEENSK_IJLi7EEEEEEENSK_IJLi5ELi7ELi6EEEElEESW_NS3_INS4_IJSA_SC_SC_EEENS4_IJSL_SM_SN_EEENS4_IJSR_SP_SO_EEENSK_IJLi3ELi4EEEElEENS_16tensor_operation12element_wise11PassThroughES14_S14_Li64ELi128ELi64ELi16ELi16ELi2ELi2ELi4ENSK_IJLi4ELi32ELi1EEEENSK_IJLi1ELi0ELi2EEEES16_Li2ELi2ELi2ELb0ELb1ELb1ES15_S16_S16_Li2ELi2ELi2ELb0ELb1ELb1ELi1ELi1ENSK_IJLi1ELi32ELi1ELi4EEEELi8ELi1ELNS_13LoopSchedulerE0ELNS_15PipelineVersionE0EEEDF16bDF16bDF16bSW_SW_NS3_INS4_IJSA_SC_SC_NSD_INS4_IJiNS7_IiLi64EEEEEELb0EEENSD_INS4_IJiNS7_IiLi128EEEEEELb0EEEEEENS4_IJSL_SM_SN_SP_SO_EEENS4_IJSR_SP_SO_SS_NSK_IJLi7ELi8EEEEEEENSK_IJLi5ELi6ELi7ELi8EEEElEES14_S14_S14_NS_31BlockToCTileMap_M00_N0_M01AdaptILi64ELi128ES11_iEELb0EEEvPKT0_PKT1_PT2_T3_T4_T5_T6_T7_T8_T9_.numbered_sgpr, 48
	.set _ZN2ck16kernel_gemm_wmmaINS_17GridwiseGemm_WmmaILi128EDF16bDF16bffDF16bLNS_25InMemoryDataOperationEnumE0ENS_16TensorDescriptorINS_5TupleIJNS_5EmbedINS4_IJiiEEENS4_IJiNS_17integral_constantIiLi1EEEEEELb0EEENS_8RightPadIiiLb0EEESC_NS_7UnMergeINS4_IJiNS7_IiLi2EEEEEELb0EEENS_11PassThroughIiEEEEENS4_IJNS_8SequenceIJLi0EEEENSK_IJLi1EEEENSK_IJLi2EEEENSK_IJLi4EEEENSK_IJLi3EEEEEEENS4_IJNSK_IJLi1ELi2EEEESP_SO_NSK_IJLi5ELi6EEEENSK_IJLi7EEEEEEENSK_IJLi5ELi7ELi6EEEElEESW_NS3_INS4_IJSA_SC_SC_EEENS4_IJSL_SM_SN_EEENS4_IJSR_SP_SO_EEENSK_IJLi3ELi4EEEElEENS_16tensor_operation12element_wise11PassThroughES14_S14_Li64ELi128ELi64ELi16ELi16ELi2ELi2ELi4ENSK_IJLi4ELi32ELi1EEEENSK_IJLi1ELi0ELi2EEEES16_Li2ELi2ELi2ELb0ELb1ELb1ES15_S16_S16_Li2ELi2ELi2ELb0ELb1ELb1ELi1ELi1ENSK_IJLi1ELi32ELi1ELi4EEEELi8ELi1ELNS_13LoopSchedulerE0ELNS_15PipelineVersionE0EEEDF16bDF16bDF16bSW_SW_NS3_INS4_IJSA_SC_SC_NSD_INS4_IJiNS7_IiLi64EEEEEELb0EEENSD_INS4_IJiNS7_IiLi128EEEEEELb0EEEEEENS4_IJSL_SM_SN_SP_SO_EEENS4_IJSR_SP_SO_SS_NSK_IJLi7ELi8EEEEEEENSK_IJLi5ELi6ELi7ELi8EEEElEES14_S14_S14_NS_31BlockToCTileMap_M00_N0_M01AdaptILi64ELi128ES11_iEELb0EEEvPKT0_PKT1_PT2_T3_T4_T5_T6_T7_T8_T9_.num_named_barrier, 0
	.set _ZN2ck16kernel_gemm_wmmaINS_17GridwiseGemm_WmmaILi128EDF16bDF16bffDF16bLNS_25InMemoryDataOperationEnumE0ENS_16TensorDescriptorINS_5TupleIJNS_5EmbedINS4_IJiiEEENS4_IJiNS_17integral_constantIiLi1EEEEEELb0EEENS_8RightPadIiiLb0EEESC_NS_7UnMergeINS4_IJiNS7_IiLi2EEEEEELb0EEENS_11PassThroughIiEEEEENS4_IJNS_8SequenceIJLi0EEEENSK_IJLi1EEEENSK_IJLi2EEEENSK_IJLi4EEEENSK_IJLi3EEEEEEENS4_IJNSK_IJLi1ELi2EEEESP_SO_NSK_IJLi5ELi6EEEENSK_IJLi7EEEEEEENSK_IJLi5ELi7ELi6EEEElEESW_NS3_INS4_IJSA_SC_SC_EEENS4_IJSL_SM_SN_EEENS4_IJSR_SP_SO_EEENSK_IJLi3ELi4EEEElEENS_16tensor_operation12element_wise11PassThroughES14_S14_Li64ELi128ELi64ELi16ELi16ELi2ELi2ELi4ENSK_IJLi4ELi32ELi1EEEENSK_IJLi1ELi0ELi2EEEES16_Li2ELi2ELi2ELb0ELb1ELb1ES15_S16_S16_Li2ELi2ELi2ELb0ELb1ELb1ELi1ELi1ENSK_IJLi1ELi32ELi1ELi4EEEELi8ELi1ELNS_13LoopSchedulerE0ELNS_15PipelineVersionE0EEEDF16bDF16bDF16bSW_SW_NS3_INS4_IJSA_SC_SC_NSD_INS4_IJiNS7_IiLi64EEEEEELb0EEENSD_INS4_IJiNS7_IiLi128EEEEEELb0EEEEEENS4_IJSL_SM_SN_SP_SO_EEENS4_IJSR_SP_SO_SS_NSK_IJLi7ELi8EEEEEEENSK_IJLi5ELi6ELi7ELi8EEEElEES14_S14_S14_NS_31BlockToCTileMap_M00_N0_M01AdaptILi64ELi128ES11_iEELb0EEEvPKT0_PKT1_PT2_T3_T4_T5_T6_T7_T8_T9_.private_seg_size, 0
	.set _ZN2ck16kernel_gemm_wmmaINS_17GridwiseGemm_WmmaILi128EDF16bDF16bffDF16bLNS_25InMemoryDataOperationEnumE0ENS_16TensorDescriptorINS_5TupleIJNS_5EmbedINS4_IJiiEEENS4_IJiNS_17integral_constantIiLi1EEEEEELb0EEENS_8RightPadIiiLb0EEESC_NS_7UnMergeINS4_IJiNS7_IiLi2EEEEEELb0EEENS_11PassThroughIiEEEEENS4_IJNS_8SequenceIJLi0EEEENSK_IJLi1EEEENSK_IJLi2EEEENSK_IJLi4EEEENSK_IJLi3EEEEEEENS4_IJNSK_IJLi1ELi2EEEESP_SO_NSK_IJLi5ELi6EEEENSK_IJLi7EEEEEEENSK_IJLi5ELi7ELi6EEEElEESW_NS3_INS4_IJSA_SC_SC_EEENS4_IJSL_SM_SN_EEENS4_IJSR_SP_SO_EEENSK_IJLi3ELi4EEEElEENS_16tensor_operation12element_wise11PassThroughES14_S14_Li64ELi128ELi64ELi16ELi16ELi2ELi2ELi4ENSK_IJLi4ELi32ELi1EEEENSK_IJLi1ELi0ELi2EEEES16_Li2ELi2ELi2ELb0ELb1ELb1ES15_S16_S16_Li2ELi2ELi2ELb0ELb1ELb1ELi1ELi1ENSK_IJLi1ELi32ELi1ELi4EEEELi8ELi1ELNS_13LoopSchedulerE0ELNS_15PipelineVersionE0EEEDF16bDF16bDF16bSW_SW_NS3_INS4_IJSA_SC_SC_NSD_INS4_IJiNS7_IiLi64EEEEEELb0EEENSD_INS4_IJiNS7_IiLi128EEEEEELb0EEEEEENS4_IJSL_SM_SN_SP_SO_EEENS4_IJSR_SP_SO_SS_NSK_IJLi7ELi8EEEEEEENSK_IJLi5ELi6ELi7ELi8EEEElEES14_S14_S14_NS_31BlockToCTileMap_M00_N0_M01AdaptILi64ELi128ES11_iEELb0EEEvPKT0_PKT1_PT2_T3_T4_T5_T6_T7_T8_T9_.uses_vcc, 1
	.set _ZN2ck16kernel_gemm_wmmaINS_17GridwiseGemm_WmmaILi128EDF16bDF16bffDF16bLNS_25InMemoryDataOperationEnumE0ENS_16TensorDescriptorINS_5TupleIJNS_5EmbedINS4_IJiiEEENS4_IJiNS_17integral_constantIiLi1EEEEEELb0EEENS_8RightPadIiiLb0EEESC_NS_7UnMergeINS4_IJiNS7_IiLi2EEEEEELb0EEENS_11PassThroughIiEEEEENS4_IJNS_8SequenceIJLi0EEEENSK_IJLi1EEEENSK_IJLi2EEEENSK_IJLi4EEEENSK_IJLi3EEEEEEENS4_IJNSK_IJLi1ELi2EEEESP_SO_NSK_IJLi5ELi6EEEENSK_IJLi7EEEEEEENSK_IJLi5ELi7ELi6EEEElEESW_NS3_INS4_IJSA_SC_SC_EEENS4_IJSL_SM_SN_EEENS4_IJSR_SP_SO_EEENSK_IJLi3ELi4EEEElEENS_16tensor_operation12element_wise11PassThroughES14_S14_Li64ELi128ELi64ELi16ELi16ELi2ELi2ELi4ENSK_IJLi4ELi32ELi1EEEENSK_IJLi1ELi0ELi2EEEES16_Li2ELi2ELi2ELb0ELb1ELb1ES15_S16_S16_Li2ELi2ELi2ELb0ELb1ELb1ELi1ELi1ENSK_IJLi1ELi32ELi1ELi4EEEELi8ELi1ELNS_13LoopSchedulerE0ELNS_15PipelineVersionE0EEEDF16bDF16bDF16bSW_SW_NS3_INS4_IJSA_SC_SC_NSD_INS4_IJiNS7_IiLi64EEEEEELb0EEENSD_INS4_IJiNS7_IiLi128EEEEEELb0EEEEEENS4_IJSL_SM_SN_SP_SO_EEENS4_IJSR_SP_SO_SS_NSK_IJLi7ELi8EEEEEEENSK_IJLi5ELi6ELi7ELi8EEEElEES14_S14_S14_NS_31BlockToCTileMap_M00_N0_M01AdaptILi64ELi128ES11_iEELb0EEEvPKT0_PKT1_PT2_T3_T4_T5_T6_T7_T8_T9_.uses_flat_scratch, 0
	.set _ZN2ck16kernel_gemm_wmmaINS_17GridwiseGemm_WmmaILi128EDF16bDF16bffDF16bLNS_25InMemoryDataOperationEnumE0ENS_16TensorDescriptorINS_5TupleIJNS_5EmbedINS4_IJiiEEENS4_IJiNS_17integral_constantIiLi1EEEEEELb0EEENS_8RightPadIiiLb0EEESC_NS_7UnMergeINS4_IJiNS7_IiLi2EEEEEELb0EEENS_11PassThroughIiEEEEENS4_IJNS_8SequenceIJLi0EEEENSK_IJLi1EEEENSK_IJLi2EEEENSK_IJLi4EEEENSK_IJLi3EEEEEEENS4_IJNSK_IJLi1ELi2EEEESP_SO_NSK_IJLi5ELi6EEEENSK_IJLi7EEEEEEENSK_IJLi5ELi7ELi6EEEElEESW_NS3_INS4_IJSA_SC_SC_EEENS4_IJSL_SM_SN_EEENS4_IJSR_SP_SO_EEENSK_IJLi3ELi4EEEElEENS_16tensor_operation12element_wise11PassThroughES14_S14_Li64ELi128ELi64ELi16ELi16ELi2ELi2ELi4ENSK_IJLi4ELi32ELi1EEEENSK_IJLi1ELi0ELi2EEEES16_Li2ELi2ELi2ELb0ELb1ELb1ES15_S16_S16_Li2ELi2ELi2ELb0ELb1ELb1ELi1ELi1ENSK_IJLi1ELi32ELi1ELi4EEEELi8ELi1ELNS_13LoopSchedulerE0ELNS_15PipelineVersionE0EEEDF16bDF16bDF16bSW_SW_NS3_INS4_IJSA_SC_SC_NSD_INS4_IJiNS7_IiLi64EEEEEELb0EEENSD_INS4_IJiNS7_IiLi128EEEEEELb0EEEEEENS4_IJSL_SM_SN_SP_SO_EEENS4_IJSR_SP_SO_SS_NSK_IJLi7ELi8EEEEEEENSK_IJLi5ELi6ELi7ELi8EEEElEES14_S14_S14_NS_31BlockToCTileMap_M00_N0_M01AdaptILi64ELi128ES11_iEELb0EEEvPKT0_PKT1_PT2_T3_T4_T5_T6_T7_T8_T9_.has_dyn_sized_stack, 0
	.set _ZN2ck16kernel_gemm_wmmaINS_17GridwiseGemm_WmmaILi128EDF16bDF16bffDF16bLNS_25InMemoryDataOperationEnumE0ENS_16TensorDescriptorINS_5TupleIJNS_5EmbedINS4_IJiiEEENS4_IJiNS_17integral_constantIiLi1EEEEEELb0EEENS_8RightPadIiiLb0EEESC_NS_7UnMergeINS4_IJiNS7_IiLi2EEEEEELb0EEENS_11PassThroughIiEEEEENS4_IJNS_8SequenceIJLi0EEEENSK_IJLi1EEEENSK_IJLi2EEEENSK_IJLi4EEEENSK_IJLi3EEEEEEENS4_IJNSK_IJLi1ELi2EEEESP_SO_NSK_IJLi5ELi6EEEENSK_IJLi7EEEEEEENSK_IJLi5ELi7ELi6EEEElEESW_NS3_INS4_IJSA_SC_SC_EEENS4_IJSL_SM_SN_EEENS4_IJSR_SP_SO_EEENSK_IJLi3ELi4EEEElEENS_16tensor_operation12element_wise11PassThroughES14_S14_Li64ELi128ELi64ELi16ELi16ELi2ELi2ELi4ENSK_IJLi4ELi32ELi1EEEENSK_IJLi1ELi0ELi2EEEES16_Li2ELi2ELi2ELb0ELb1ELb1ES15_S16_S16_Li2ELi2ELi2ELb0ELb1ELb1ELi1ELi1ENSK_IJLi1ELi32ELi1ELi4EEEELi8ELi1ELNS_13LoopSchedulerE0ELNS_15PipelineVersionE0EEEDF16bDF16bDF16bSW_SW_NS3_INS4_IJSA_SC_SC_NSD_INS4_IJiNS7_IiLi64EEEEEELb0EEENSD_INS4_IJiNS7_IiLi128EEEEEELb0EEEEEENS4_IJSL_SM_SN_SP_SO_EEENS4_IJSR_SP_SO_SS_NSK_IJLi7ELi8EEEEEEENSK_IJLi5ELi6ELi7ELi8EEEElEES14_S14_S14_NS_31BlockToCTileMap_M00_N0_M01AdaptILi64ELi128ES11_iEELb0EEEvPKT0_PKT1_PT2_T3_T4_T5_T6_T7_T8_T9_.has_recursion, 0
	.set _ZN2ck16kernel_gemm_wmmaINS_17GridwiseGemm_WmmaILi128EDF16bDF16bffDF16bLNS_25InMemoryDataOperationEnumE0ENS_16TensorDescriptorINS_5TupleIJNS_5EmbedINS4_IJiiEEENS4_IJiNS_17integral_constantIiLi1EEEEEELb0EEENS_8RightPadIiiLb0EEESC_NS_7UnMergeINS4_IJiNS7_IiLi2EEEEEELb0EEENS_11PassThroughIiEEEEENS4_IJNS_8SequenceIJLi0EEEENSK_IJLi1EEEENSK_IJLi2EEEENSK_IJLi4EEEENSK_IJLi3EEEEEEENS4_IJNSK_IJLi1ELi2EEEESP_SO_NSK_IJLi5ELi6EEEENSK_IJLi7EEEEEEENSK_IJLi5ELi7ELi6EEEElEESW_NS3_INS4_IJSA_SC_SC_EEENS4_IJSL_SM_SN_EEENS4_IJSR_SP_SO_EEENSK_IJLi3ELi4EEEElEENS_16tensor_operation12element_wise11PassThroughES14_S14_Li64ELi128ELi64ELi16ELi16ELi2ELi2ELi4ENSK_IJLi4ELi32ELi1EEEENSK_IJLi1ELi0ELi2EEEES16_Li2ELi2ELi2ELb0ELb1ELb1ES15_S16_S16_Li2ELi2ELi2ELb0ELb1ELb1ELi1ELi1ENSK_IJLi1ELi32ELi1ELi4EEEELi8ELi1ELNS_13LoopSchedulerE0ELNS_15PipelineVersionE0EEEDF16bDF16bDF16bSW_SW_NS3_INS4_IJSA_SC_SC_NSD_INS4_IJiNS7_IiLi64EEEEEELb0EEENSD_INS4_IJiNS7_IiLi128EEEEEELb0EEEEEENS4_IJSL_SM_SN_SP_SO_EEENS4_IJSR_SP_SO_SS_NSK_IJLi7ELi8EEEEEEENSK_IJLi5ELi6ELi7ELi8EEEElEES14_S14_S14_NS_31BlockToCTileMap_M00_N0_M01AdaptILi64ELi128ES11_iEELb0EEEvPKT0_PKT1_PT2_T3_T4_T5_T6_T7_T8_T9_.has_indirect_call, 0
	.section	.AMDGPU.csdata,"",@progbits
; Kernel info:
; codeLenInByte = 9828
; TotalNumSgprs: 50
; NumVgprs: 139
; ScratchSize: 0
; MemoryBound: 0
; FloatMode: 240
; IeeeMode: 1
; LDSByteSize: 24824 bytes/workgroup (compile time only)
; SGPRBlocks: 0
; VGPRBlocks: 17
; NumSGPRsForWavesPerEU: 50
; NumVGPRsForWavesPerEU: 139
; Occupancy: 10
; WaveLimiterHint : 0
; COMPUTE_PGM_RSRC2:SCRATCH_EN: 0
; COMPUTE_PGM_RSRC2:USER_SGPR: 2
; COMPUTE_PGM_RSRC2:TRAP_HANDLER: 0
; COMPUTE_PGM_RSRC2:TGID_X_EN: 1
; COMPUTE_PGM_RSRC2:TGID_Y_EN: 0
; COMPUTE_PGM_RSRC2:TGID_Z_EN: 0
; COMPUTE_PGM_RSRC2:TIDIG_COMP_CNT: 0
	.section	.text._ZN2ck17naive_gemm_kernelINS_13tensor_layout4gemm8RowMajorENS2_11ColumnMajorES3_DF16bDF16bDF16bfNS_16tensor_operation12element_wise11PassThroughES7_S7_DF16bDF16bEEvPKT2_PKT3_PT4_iiiT6_T7_T8_,"axG",@progbits,_ZN2ck17naive_gemm_kernelINS_13tensor_layout4gemm8RowMajorENS2_11ColumnMajorES3_DF16bDF16bDF16bfNS_16tensor_operation12element_wise11PassThroughES7_S7_DF16bDF16bEEvPKT2_PKT3_PT4_iiiT6_T7_T8_,comdat
	.protected	_ZN2ck17naive_gemm_kernelINS_13tensor_layout4gemm8RowMajorENS2_11ColumnMajorES3_DF16bDF16bDF16bfNS_16tensor_operation12element_wise11PassThroughES7_S7_DF16bDF16bEEvPKT2_PKT3_PT4_iiiT6_T7_T8_ ; -- Begin function _ZN2ck17naive_gemm_kernelINS_13tensor_layout4gemm8RowMajorENS2_11ColumnMajorES3_DF16bDF16bDF16bfNS_16tensor_operation12element_wise11PassThroughES7_S7_DF16bDF16bEEvPKT2_PKT3_PT4_iiiT6_T7_T8_
	.globl	_ZN2ck17naive_gemm_kernelINS_13tensor_layout4gemm8RowMajorENS2_11ColumnMajorES3_DF16bDF16bDF16bfNS_16tensor_operation12element_wise11PassThroughES7_S7_DF16bDF16bEEvPKT2_PKT3_PT4_iiiT6_T7_T8_
	.p2align	8
	.type	_ZN2ck17naive_gemm_kernelINS_13tensor_layout4gemm8RowMajorENS2_11ColumnMajorES3_DF16bDF16bDF16bfNS_16tensor_operation12element_wise11PassThroughES7_S7_DF16bDF16bEEvPKT2_PKT3_PT4_iiiT6_T7_T8_,@function
_ZN2ck17naive_gemm_kernelINS_13tensor_layout4gemm8RowMajorENS2_11ColumnMajorES3_DF16bDF16bDF16bfNS_16tensor_operation12element_wise11PassThroughES7_S7_DF16bDF16bEEvPKT2_PKT3_PT4_iiiT6_T7_T8_: ; @_ZN2ck17naive_gemm_kernelINS_13tensor_layout4gemm8RowMajorENS2_11ColumnMajorES3_DF16bDF16bDF16bfNS_16tensor_operation12element_wise11PassThroughES7_S7_DF16bDF16bEEvPKT2_PKT3_PT4_iiiT6_T7_T8_
; %bb.0:
	s_clause 0x1
	s_load_b32 s2, s[0:1], 0x34
	s_load_b96 s[4:6], s[0:1], 0x18
	v_and_b32_e32 v1, 0x3ff, v0
	v_bfe_u32 v2, v0, 10, 10
	s_wait_kmcnt 0x0
	s_lshr_b32 s3, s2, 16
	s_and_b32 s2, s2, 0xffff
	s_delay_alu instid0(VALU_DEP_1) | instid1(SALU_CYCLE_1)
	v_mad_co_u64_u32 v[0:1], null, ttmp9, s2, v[1:2]
	v_mad_co_u64_u32 v[1:2], null, ttmp7, s3, v[2:3]
	s_delay_alu instid0(VALU_DEP_2) | instskip(NEXT) | instid1(VALU_DEP_2)
	v_cmp_gt_i32_e32 vcc_lo, s4, v0
	v_cmp_gt_i32_e64 s2, s5, v1
	s_and_b32 s2, vcc_lo, s2
	s_wait_alu 0xfffe
	s_and_saveexec_b32 s3, s2
	s_cbranch_execz .LBB3_7
; %bb.1:
	s_load_b64 s[2:3], s[0:1], 0x10
	s_cmp_lt_i32 s6, 1
	s_cbranch_scc1 .LBB3_5
; %bb.2:
	s_load_b128 s[8:11], s[0:1], 0x0
	v_mul_lo_u32 v2, v1, s6
	v_mul_lo_u32 v4, v0, s6
	v_mov_b32_e32 v6, 0
	s_delay_alu instid0(VALU_DEP_3) | instskip(NEXT) | instid1(VALU_DEP_3)
	v_ashrrev_i32_e32 v3, 31, v2
	v_ashrrev_i32_e32 v5, 31, v4
	s_delay_alu instid0(VALU_DEP_2) | instskip(NEXT) | instid1(VALU_DEP_2)
	v_lshlrev_b64_e32 v[2:3], 1, v[2:3]
	v_lshlrev_b64_e32 v[4:5], 1, v[4:5]
	s_wait_kmcnt 0x0
	s_delay_alu instid0(VALU_DEP_2) | instskip(NEXT) | instid1(VALU_DEP_1)
	v_add_co_u32 v2, vcc_lo, s10, v2
	v_add_co_ci_u32_e64 v3, null, s11, v3, vcc_lo
	s_delay_alu instid0(VALU_DEP_3)
	v_add_co_u32 v4, vcc_lo, s8, v4
	s_wait_alu 0xfffd
	v_add_co_ci_u32_e64 v5, null, s9, v5, vcc_lo
.LBB3_3:                                ; =>This Inner Loop Header: Depth=1
	global_load_u16 v7, v[4:5], off
	global_load_u16 v8, v[2:3], off
	v_add_co_u32 v2, vcc_lo, v2, 2
	s_wait_alu 0xfffd
	v_add_co_ci_u32_e64 v3, null, 0, v3, vcc_lo
	v_add_co_u32 v4, vcc_lo, v4, 2
	s_wait_alu 0xfffd
	v_add_co_ci_u32_e64 v5, null, 0, v5, vcc_lo
	s_add_co_i32 s6, s6, -1
	s_wait_alu 0xfffe
	s_cmp_eq_u32 s6, 0
	s_wait_loadcnt 0x1
	v_lshlrev_b32_e32 v7, 16, v7
	s_wait_loadcnt 0x0
	v_lshlrev_b32_e32 v8, 16, v8
	s_delay_alu instid0(VALU_DEP_1)
	v_fmac_f32_e32 v6, v7, v8
	s_cbranch_scc0 .LBB3_3
; %bb.4:
	s_delay_alu instid0(VALU_DEP_1) | instskip(SKIP_2) | instid1(VALU_DEP_3)
	v_bfe_u32 v2, v6, 16, 1
	v_or_b32_e32 v3, 0x400000, v6
	v_cmp_u_f32_e32 vcc_lo, v6, v6
	v_add3_u32 v2, v2, v6, 0x7fff
	s_wait_alu 0xfffd
	s_delay_alu instid0(VALU_DEP_1) | instskip(NEXT) | instid1(VALU_DEP_1)
	v_cndmask_b32_e32 v2, v2, v3, vcc_lo
	v_lshrrev_b32_e32 v2, 16, v2
	s_branch .LBB3_6
.LBB3_5:
	v_mov_b32_e32 v2, 0
.LBB3_6:
	s_delay_alu instid0(VALU_DEP_1) | instskip(NEXT) | instid1(VALU_DEP_1)
	v_mad_co_u64_u32 v[0:1], null, v0, s5, v[1:2]
	v_ashrrev_i32_e32 v1, 31, v0
	s_delay_alu instid0(VALU_DEP_1) | instskip(SKIP_1) | instid1(VALU_DEP_1)
	v_lshlrev_b64_e32 v[0:1], 1, v[0:1]
	s_wait_kmcnt 0x0
	v_add_co_u32 v0, vcc_lo, s2, v0
	s_wait_alu 0xfffd
	s_delay_alu instid0(VALU_DEP_2)
	v_add_co_ci_u32_e64 v1, null, s3, v1, vcc_lo
	global_store_b16 v[0:1], v2, off
.LBB3_7:
	s_endpgm
	.section	.rodata,"a",@progbits
	.p2align	6, 0x0
	.amdhsa_kernel _ZN2ck17naive_gemm_kernelINS_13tensor_layout4gemm8RowMajorENS2_11ColumnMajorES3_DF16bDF16bDF16bfNS_16tensor_operation12element_wise11PassThroughES7_S7_DF16bDF16bEEvPKT2_PKT3_PT4_iiiT6_T7_T8_
		.amdhsa_group_segment_fixed_size 0
		.amdhsa_private_segment_fixed_size 0
		.amdhsa_kernarg_size 296
		.amdhsa_user_sgpr_count 2
		.amdhsa_user_sgpr_dispatch_ptr 0
		.amdhsa_user_sgpr_queue_ptr 0
		.amdhsa_user_sgpr_kernarg_segment_ptr 1
		.amdhsa_user_sgpr_dispatch_id 0
		.amdhsa_user_sgpr_private_segment_size 0
		.amdhsa_wavefront_size32 1
		.amdhsa_uses_dynamic_stack 0
		.amdhsa_enable_private_segment 0
		.amdhsa_system_sgpr_workgroup_id_x 1
		.amdhsa_system_sgpr_workgroup_id_y 1
		.amdhsa_system_sgpr_workgroup_id_z 0
		.amdhsa_system_sgpr_workgroup_info 0
		.amdhsa_system_vgpr_workitem_id 1
		.amdhsa_next_free_vgpr 9
		.amdhsa_next_free_sgpr 12
		.amdhsa_reserve_vcc 1
		.amdhsa_float_round_mode_32 0
		.amdhsa_float_round_mode_16_64 0
		.amdhsa_float_denorm_mode_32 3
		.amdhsa_float_denorm_mode_16_64 3
		.amdhsa_fp16_overflow 0
		.amdhsa_workgroup_processor_mode 1
		.amdhsa_memory_ordered 1
		.amdhsa_forward_progress 1
		.amdhsa_inst_pref_size 4
		.amdhsa_round_robin_scheduling 0
		.amdhsa_exception_fp_ieee_invalid_op 0
		.amdhsa_exception_fp_denorm_src 0
		.amdhsa_exception_fp_ieee_div_zero 0
		.amdhsa_exception_fp_ieee_overflow 0
		.amdhsa_exception_fp_ieee_underflow 0
		.amdhsa_exception_fp_ieee_inexact 0
		.amdhsa_exception_int_div_zero 0
	.end_amdhsa_kernel
	.section	.text._ZN2ck17naive_gemm_kernelINS_13tensor_layout4gemm8RowMajorENS2_11ColumnMajorES3_DF16bDF16bDF16bfNS_16tensor_operation12element_wise11PassThroughES7_S7_DF16bDF16bEEvPKT2_PKT3_PT4_iiiT6_T7_T8_,"axG",@progbits,_ZN2ck17naive_gemm_kernelINS_13tensor_layout4gemm8RowMajorENS2_11ColumnMajorES3_DF16bDF16bDF16bfNS_16tensor_operation12element_wise11PassThroughES7_S7_DF16bDF16bEEvPKT2_PKT3_PT4_iiiT6_T7_T8_,comdat
.Lfunc_end3:
	.size	_ZN2ck17naive_gemm_kernelINS_13tensor_layout4gemm8RowMajorENS2_11ColumnMajorES3_DF16bDF16bDF16bfNS_16tensor_operation12element_wise11PassThroughES7_S7_DF16bDF16bEEvPKT2_PKT3_PT4_iiiT6_T7_T8_, .Lfunc_end3-_ZN2ck17naive_gemm_kernelINS_13tensor_layout4gemm8RowMajorENS2_11ColumnMajorES3_DF16bDF16bDF16bfNS_16tensor_operation12element_wise11PassThroughES7_S7_DF16bDF16bEEvPKT2_PKT3_PT4_iiiT6_T7_T8_
                                        ; -- End function
	.set _ZN2ck17naive_gemm_kernelINS_13tensor_layout4gemm8RowMajorENS2_11ColumnMajorES3_DF16bDF16bDF16bfNS_16tensor_operation12element_wise11PassThroughES7_S7_DF16bDF16bEEvPKT2_PKT3_PT4_iiiT6_T7_T8_.num_vgpr, 9
	.set _ZN2ck17naive_gemm_kernelINS_13tensor_layout4gemm8RowMajorENS2_11ColumnMajorES3_DF16bDF16bDF16bfNS_16tensor_operation12element_wise11PassThroughES7_S7_DF16bDF16bEEvPKT2_PKT3_PT4_iiiT6_T7_T8_.num_agpr, 0
	.set _ZN2ck17naive_gemm_kernelINS_13tensor_layout4gemm8RowMajorENS2_11ColumnMajorES3_DF16bDF16bDF16bfNS_16tensor_operation12element_wise11PassThroughES7_S7_DF16bDF16bEEvPKT2_PKT3_PT4_iiiT6_T7_T8_.numbered_sgpr, 12
	.set _ZN2ck17naive_gemm_kernelINS_13tensor_layout4gemm8RowMajorENS2_11ColumnMajorES3_DF16bDF16bDF16bfNS_16tensor_operation12element_wise11PassThroughES7_S7_DF16bDF16bEEvPKT2_PKT3_PT4_iiiT6_T7_T8_.num_named_barrier, 0
	.set _ZN2ck17naive_gemm_kernelINS_13tensor_layout4gemm8RowMajorENS2_11ColumnMajorES3_DF16bDF16bDF16bfNS_16tensor_operation12element_wise11PassThroughES7_S7_DF16bDF16bEEvPKT2_PKT3_PT4_iiiT6_T7_T8_.private_seg_size, 0
	.set _ZN2ck17naive_gemm_kernelINS_13tensor_layout4gemm8RowMajorENS2_11ColumnMajorES3_DF16bDF16bDF16bfNS_16tensor_operation12element_wise11PassThroughES7_S7_DF16bDF16bEEvPKT2_PKT3_PT4_iiiT6_T7_T8_.uses_vcc, 1
	.set _ZN2ck17naive_gemm_kernelINS_13tensor_layout4gemm8RowMajorENS2_11ColumnMajorES3_DF16bDF16bDF16bfNS_16tensor_operation12element_wise11PassThroughES7_S7_DF16bDF16bEEvPKT2_PKT3_PT4_iiiT6_T7_T8_.uses_flat_scratch, 0
	.set _ZN2ck17naive_gemm_kernelINS_13tensor_layout4gemm8RowMajorENS2_11ColumnMajorES3_DF16bDF16bDF16bfNS_16tensor_operation12element_wise11PassThroughES7_S7_DF16bDF16bEEvPKT2_PKT3_PT4_iiiT6_T7_T8_.has_dyn_sized_stack, 0
	.set _ZN2ck17naive_gemm_kernelINS_13tensor_layout4gemm8RowMajorENS2_11ColumnMajorES3_DF16bDF16bDF16bfNS_16tensor_operation12element_wise11PassThroughES7_S7_DF16bDF16bEEvPKT2_PKT3_PT4_iiiT6_T7_T8_.has_recursion, 0
	.set _ZN2ck17naive_gemm_kernelINS_13tensor_layout4gemm8RowMajorENS2_11ColumnMajorES3_DF16bDF16bDF16bfNS_16tensor_operation12element_wise11PassThroughES7_S7_DF16bDF16bEEvPKT2_PKT3_PT4_iiiT6_T7_T8_.has_indirect_call, 0
	.section	.AMDGPU.csdata,"",@progbits
; Kernel info:
; codeLenInByte = 452
; TotalNumSgprs: 14
; NumVgprs: 9
; ScratchSize: 0
; MemoryBound: 0
; FloatMode: 240
; IeeeMode: 1
; LDSByteSize: 0 bytes/workgroup (compile time only)
; SGPRBlocks: 0
; VGPRBlocks: 1
; NumSGPRsForWavesPerEU: 14
; NumVGPRsForWavesPerEU: 9
; Occupancy: 16
; WaveLimiterHint : 0
; COMPUTE_PGM_RSRC2:SCRATCH_EN: 0
; COMPUTE_PGM_RSRC2:USER_SGPR: 2
; COMPUTE_PGM_RSRC2:TRAP_HANDLER: 0
; COMPUTE_PGM_RSRC2:TGID_X_EN: 1
; COMPUTE_PGM_RSRC2:TGID_Y_EN: 1
; COMPUTE_PGM_RSRC2:TGID_Z_EN: 0
; COMPUTE_PGM_RSRC2:TIDIG_COMP_CNT: 1
	.section	.AMDGPU.gpr_maximums,"",@progbits
	.set amdgpu.max_num_vgpr, 0
	.set amdgpu.max_num_agpr, 0
	.set amdgpu.max_num_sgpr, 0
	.section	.AMDGPU.csdata,"",@progbits
	.type	__hip_cuid_c67b9b027c14e770,@object ; @__hip_cuid_c67b9b027c14e770
	.section	.bss,"aw",@nobits
	.globl	__hip_cuid_c67b9b027c14e770
__hip_cuid_c67b9b027c14e770:
	.byte	0                               ; 0x0
	.size	__hip_cuid_c67b9b027c14e770, 1

	.ident	"AMD clang version 22.0.0git (https://github.com/RadeonOpenCompute/llvm-project roc-7.2.4 26084 f58b06dce1f9c15707c5f808fd002e18c2accf7e)"
	.section	".note.GNU-stack","",@progbits
	.addrsig
	.addrsig_sym __hip_cuid_c67b9b027c14e770
	.amdgpu_metadata
---
amdhsa.kernels:
  - .args:           []
    .group_segment_fixed_size: 0
    .kernarg_segment_align: 4
    .kernarg_segment_size: 0
    .language:       OpenCL C
    .language_version:
      - 2
      - 0
    .max_flat_workgroup_size: 1024
    .name:           _ZN2ckL12flush_icacheEv
    .private_segment_fixed_size: 0
    .sgpr_count:     0
    .sgpr_spill_count: 0
    .symbol:         _ZN2ckL12flush_icacheEv.kd
    .uniform_work_group_size: 1
    .uses_dynamic_stack: false
    .vgpr_count:     0
    .vgpr_spill_count: 0
    .wavefront_size: 32
    .workgroup_processor_mode: 1
  - .args:
      - .actual_access:  read_only
        .address_space:  global
        .offset:         0
        .size:           8
        .value_kind:     global_buffer
      - .actual_access:  read_only
        .address_space:  global
        .offset:         8
        .size:           8
        .value_kind:     global_buffer
      - .actual_access:  write_only
        .address_space:  global
        .offset:         16
        .size:           8
        .value_kind:     global_buffer
      - .offset:         24
        .size:           72
        .value_kind:     by_value
      - .offset:         96
        .size:           72
        .value_kind:     by_value
      - .offset:         168
        .size:           80
        .value_kind:     by_value
      - .offset:         248
        .size:           1
        .value_kind:     by_value
      - .offset:         249
        .size:           1
        .value_kind:     by_value
      - .offset:         250
        .size:           1
        .value_kind:     by_value
      - .offset:         252
        .size:           12
        .value_kind:     by_value
    .group_segment_fixed_size: 24824
    .kernarg_segment_align: 8
    .kernarg_segment_size: 264
    .language:       OpenCL C
    .language_version:
      - 2
      - 0
    .max_flat_workgroup_size: 256
    .name:           _ZN2ck16kernel_gemm_wmmaINS_17GridwiseGemm_WmmaILi128EDF16bDF16bffDF16bLNS_25InMemoryDataOperationEnumE0ENS_16TensorDescriptorINS_5TupleIJNS_5EmbedINS4_IJiiEEENS4_IJiNS_17integral_constantIiLi1EEEEEELb0EEENS_8RightPadIiiLb0EEESC_NS_7UnMergeINS4_IJiNS7_IiLi2EEEEEELb0EEENS_11PassThroughIiEEEEENS4_IJNS_8SequenceIJLi0EEEENSK_IJLi1EEEENSK_IJLi2EEEENSK_IJLi4EEEENSK_IJLi3EEEEEEENS4_IJNSK_IJLi1ELi2EEEESP_SO_NSK_IJLi5ELi6EEEENSK_IJLi7EEEEEEENSK_IJLi5ELi7ELi6EEEElEESW_NS3_INS4_IJSA_SC_SC_EEENS4_IJSL_SM_SN_EEENS4_IJSR_SP_SO_EEENSK_IJLi3ELi4EEEElEENS_16tensor_operation12element_wise11PassThroughES14_S14_Li64ELi128ELi64ELi16ELi16ELi2ELi2ELi4ENSK_IJLi4ELi32ELi1EEEENSK_IJLi1ELi0ELi2EEEES16_Li2ELi2ELi2ELb0ELb1ELb1ES15_S16_S16_Li2ELi2ELi2ELb0ELb1ELb1ELi1ELi1ENSK_IJLi1ELi32ELi1ELi4EEEELi8ELi1ELNS_13LoopSchedulerE0ELNS_15PipelineVersionE0EEEDF16bDF16bDF16bSW_SW_NS3_INS4_IJSA_SC_SC_NSD_INS4_IJiNS7_IiLi64EEEEEELb0EEENSD_INS4_IJiNS7_IiLi128EEEEEELb0EEEEEENS4_IJSL_SM_SN_SP_SO_EEENS4_IJSR_SP_SO_SS_NSK_IJLi7ELi8EEEEEEENSK_IJLi5ELi6ELi7ELi8EEEElEES14_S14_S14_NS_31BlockToCTileMap_M00_N0_M01AdaptILi64ELi128ES11_iEELb1EEEvPKT0_PKT1_PT2_T3_T4_T5_T6_T7_T8_T9_
    .private_segment_fixed_size: 0
    .sgpr_count:     75
    .sgpr_spill_count: 0
    .symbol:         _ZN2ck16kernel_gemm_wmmaINS_17GridwiseGemm_WmmaILi128EDF16bDF16bffDF16bLNS_25InMemoryDataOperationEnumE0ENS_16TensorDescriptorINS_5TupleIJNS_5EmbedINS4_IJiiEEENS4_IJiNS_17integral_constantIiLi1EEEEEELb0EEENS_8RightPadIiiLb0EEESC_NS_7UnMergeINS4_IJiNS7_IiLi2EEEEEELb0EEENS_11PassThroughIiEEEEENS4_IJNS_8SequenceIJLi0EEEENSK_IJLi1EEEENSK_IJLi2EEEENSK_IJLi4EEEENSK_IJLi3EEEEEEENS4_IJNSK_IJLi1ELi2EEEESP_SO_NSK_IJLi5ELi6EEEENSK_IJLi7EEEEEEENSK_IJLi5ELi7ELi6EEEElEESW_NS3_INS4_IJSA_SC_SC_EEENS4_IJSL_SM_SN_EEENS4_IJSR_SP_SO_EEENSK_IJLi3ELi4EEEElEENS_16tensor_operation12element_wise11PassThroughES14_S14_Li64ELi128ELi64ELi16ELi16ELi2ELi2ELi4ENSK_IJLi4ELi32ELi1EEEENSK_IJLi1ELi0ELi2EEEES16_Li2ELi2ELi2ELb0ELb1ELb1ES15_S16_S16_Li2ELi2ELi2ELb0ELb1ELb1ELi1ELi1ENSK_IJLi1ELi32ELi1ELi4EEEELi8ELi1ELNS_13LoopSchedulerE0ELNS_15PipelineVersionE0EEEDF16bDF16bDF16bSW_SW_NS3_INS4_IJSA_SC_SC_NSD_INS4_IJiNS7_IiLi64EEEEEELb0EEENSD_INS4_IJiNS7_IiLi128EEEEEELb0EEEEEENS4_IJSL_SM_SN_SP_SO_EEENS4_IJSR_SP_SO_SS_NSK_IJLi7ELi8EEEEEEENSK_IJLi5ELi6ELi7ELi8EEEElEES14_S14_S14_NS_31BlockToCTileMap_M00_N0_M01AdaptILi64ELi128ES11_iEELb1EEEvPKT0_PKT1_PT2_T3_T4_T5_T6_T7_T8_T9_.kd
    .uniform_work_group_size: 1
    .uses_dynamic_stack: false
    .vgpr_count:     194
    .vgpr_spill_count: 0
    .wavefront_size: 32
    .workgroup_processor_mode: 1
  - .args:
      - .actual_access:  read_only
        .address_space:  global
        .offset:         0
        .size:           8
        .value_kind:     global_buffer
      - .actual_access:  read_only
        .address_space:  global
        .offset:         8
        .size:           8
        .value_kind:     global_buffer
      - .actual_access:  write_only
        .address_space:  global
        .offset:         16
        .size:           8
        .value_kind:     global_buffer
      - .offset:         24
        .size:           72
        .value_kind:     by_value
      - .offset:         96
        .size:           72
        .value_kind:     by_value
      - .offset:         168
        .size:           80
        .value_kind:     by_value
      - .offset:         248
        .size:           1
        .value_kind:     by_value
      - .offset:         249
        .size:           1
        .value_kind:     by_value
      - .offset:         250
        .size:           1
        .value_kind:     by_value
      - .offset:         252
        .size:           12
        .value_kind:     by_value
    .group_segment_fixed_size: 24824
    .kernarg_segment_align: 8
    .kernarg_segment_size: 264
    .language:       OpenCL C
    .language_version:
      - 2
      - 0
    .max_flat_workgroup_size: 256
    .name:           _ZN2ck16kernel_gemm_wmmaINS_17GridwiseGemm_WmmaILi128EDF16bDF16bffDF16bLNS_25InMemoryDataOperationEnumE0ENS_16TensorDescriptorINS_5TupleIJNS_5EmbedINS4_IJiiEEENS4_IJiNS_17integral_constantIiLi1EEEEEELb0EEENS_8RightPadIiiLb0EEESC_NS_7UnMergeINS4_IJiNS7_IiLi2EEEEEELb0EEENS_11PassThroughIiEEEEENS4_IJNS_8SequenceIJLi0EEEENSK_IJLi1EEEENSK_IJLi2EEEENSK_IJLi4EEEENSK_IJLi3EEEEEEENS4_IJNSK_IJLi1ELi2EEEESP_SO_NSK_IJLi5ELi6EEEENSK_IJLi7EEEEEEENSK_IJLi5ELi7ELi6EEEElEESW_NS3_INS4_IJSA_SC_SC_EEENS4_IJSL_SM_SN_EEENS4_IJSR_SP_SO_EEENSK_IJLi3ELi4EEEElEENS_16tensor_operation12element_wise11PassThroughES14_S14_Li64ELi128ELi64ELi16ELi16ELi2ELi2ELi4ENSK_IJLi4ELi32ELi1EEEENSK_IJLi1ELi0ELi2EEEES16_Li2ELi2ELi2ELb0ELb1ELb1ES15_S16_S16_Li2ELi2ELi2ELb0ELb1ELb1ELi1ELi1ENSK_IJLi1ELi32ELi1ELi4EEEELi8ELi1ELNS_13LoopSchedulerE0ELNS_15PipelineVersionE0EEEDF16bDF16bDF16bSW_SW_NS3_INS4_IJSA_SC_SC_NSD_INS4_IJiNS7_IiLi64EEEEEELb0EEENSD_INS4_IJiNS7_IiLi128EEEEEELb0EEEEEENS4_IJSL_SM_SN_SP_SO_EEENS4_IJSR_SP_SO_SS_NSK_IJLi7ELi8EEEEEEENSK_IJLi5ELi6ELi7ELi8EEEElEES14_S14_S14_NS_31BlockToCTileMap_M00_N0_M01AdaptILi64ELi128ES11_iEELb0EEEvPKT0_PKT1_PT2_T3_T4_T5_T6_T7_T8_T9_
    .private_segment_fixed_size: 0
    .sgpr_count:     50
    .sgpr_spill_count: 0
    .symbol:         _ZN2ck16kernel_gemm_wmmaINS_17GridwiseGemm_WmmaILi128EDF16bDF16bffDF16bLNS_25InMemoryDataOperationEnumE0ENS_16TensorDescriptorINS_5TupleIJNS_5EmbedINS4_IJiiEEENS4_IJiNS_17integral_constantIiLi1EEEEEELb0EEENS_8RightPadIiiLb0EEESC_NS_7UnMergeINS4_IJiNS7_IiLi2EEEEEELb0EEENS_11PassThroughIiEEEEENS4_IJNS_8SequenceIJLi0EEEENSK_IJLi1EEEENSK_IJLi2EEEENSK_IJLi4EEEENSK_IJLi3EEEEEEENS4_IJNSK_IJLi1ELi2EEEESP_SO_NSK_IJLi5ELi6EEEENSK_IJLi7EEEEEEENSK_IJLi5ELi7ELi6EEEElEESW_NS3_INS4_IJSA_SC_SC_EEENS4_IJSL_SM_SN_EEENS4_IJSR_SP_SO_EEENSK_IJLi3ELi4EEEElEENS_16tensor_operation12element_wise11PassThroughES14_S14_Li64ELi128ELi64ELi16ELi16ELi2ELi2ELi4ENSK_IJLi4ELi32ELi1EEEENSK_IJLi1ELi0ELi2EEEES16_Li2ELi2ELi2ELb0ELb1ELb1ES15_S16_S16_Li2ELi2ELi2ELb0ELb1ELb1ELi1ELi1ENSK_IJLi1ELi32ELi1ELi4EEEELi8ELi1ELNS_13LoopSchedulerE0ELNS_15PipelineVersionE0EEEDF16bDF16bDF16bSW_SW_NS3_INS4_IJSA_SC_SC_NSD_INS4_IJiNS7_IiLi64EEEEEELb0EEENSD_INS4_IJiNS7_IiLi128EEEEEELb0EEEEEENS4_IJSL_SM_SN_SP_SO_EEENS4_IJSR_SP_SO_SS_NSK_IJLi7ELi8EEEEEEENSK_IJLi5ELi6ELi7ELi8EEEElEES14_S14_S14_NS_31BlockToCTileMap_M00_N0_M01AdaptILi64ELi128ES11_iEELb0EEEvPKT0_PKT1_PT2_T3_T4_T5_T6_T7_T8_T9_.kd
    .uniform_work_group_size: 1
    .uses_dynamic_stack: false
    .vgpr_count:     139
    .vgpr_spill_count: 0
    .wavefront_size: 32
    .workgroup_processor_mode: 1
  - .args:
      - .actual_access:  read_only
        .address_space:  global
        .offset:         0
        .size:           8
        .value_kind:     global_buffer
      - .actual_access:  read_only
        .address_space:  global
        .offset:         8
        .size:           8
        .value_kind:     global_buffer
      - .actual_access:  write_only
        .address_space:  global
        .offset:         16
        .size:           8
        .value_kind:     global_buffer
      - .offset:         24
        .size:           4
        .value_kind:     by_value
      - .offset:         28
        .size:           4
        .value_kind:     by_value
      - .offset:         32
        .size:           4
        .value_kind:     by_value
      - .offset:         36
        .size:           1
        .value_kind:     by_value
      - .offset:         37
        .size:           1
        .value_kind:     by_value
      - .offset:         38
        .size:           1
        .value_kind:     by_value
      - .offset:         40
        .size:           4
        .value_kind:     hidden_block_count_x
      - .offset:         44
        .size:           4
        .value_kind:     hidden_block_count_y
      - .offset:         48
        .size:           4
        .value_kind:     hidden_block_count_z
      - .offset:         52
        .size:           2
        .value_kind:     hidden_group_size_x
      - .offset:         54
        .size:           2
        .value_kind:     hidden_group_size_y
      - .offset:         56
        .size:           2
        .value_kind:     hidden_group_size_z
      - .offset:         58
        .size:           2
        .value_kind:     hidden_remainder_x
      - .offset:         60
        .size:           2
        .value_kind:     hidden_remainder_y
      - .offset:         62
        .size:           2
        .value_kind:     hidden_remainder_z
      - .offset:         80
        .size:           8
        .value_kind:     hidden_global_offset_x
      - .offset:         88
        .size:           8
        .value_kind:     hidden_global_offset_y
      - .offset:         96
        .size:           8
        .value_kind:     hidden_global_offset_z
      - .offset:         104
        .size:           2
        .value_kind:     hidden_grid_dims
    .group_segment_fixed_size: 0
    .kernarg_segment_align: 8
    .kernarg_segment_size: 296
    .language:       OpenCL C
    .language_version:
      - 2
      - 0
    .max_flat_workgroup_size: 256
    .name:           _ZN2ck17naive_gemm_kernelINS_13tensor_layout4gemm8RowMajorENS2_11ColumnMajorES3_DF16bDF16bDF16bfNS_16tensor_operation12element_wise11PassThroughES7_S7_DF16bDF16bEEvPKT2_PKT3_PT4_iiiT6_T7_T8_
    .private_segment_fixed_size: 0
    .sgpr_count:     14
    .sgpr_spill_count: 0
    .symbol:         _ZN2ck17naive_gemm_kernelINS_13tensor_layout4gemm8RowMajorENS2_11ColumnMajorES3_DF16bDF16bDF16bfNS_16tensor_operation12element_wise11PassThroughES7_S7_DF16bDF16bEEvPKT2_PKT3_PT4_iiiT6_T7_T8_.kd
    .uniform_work_group_size: 1
    .uses_dynamic_stack: false
    .vgpr_count:     9
    .vgpr_spill_count: 0
    .wavefront_size: 32
    .workgroup_processor_mode: 1
amdhsa.target:   amdgcn-amd-amdhsa--gfx1201
amdhsa.version:
  - 1
  - 2
...

	.end_amdgpu_metadata
